;; amdgpu-corpus repo=ROCm/rocSPARSE kind=compiled arch=gfx906 opt=O3
	.amdgcn_target "amdgcn-amd-amdhsa--gfx906"
	.amdhsa_code_object_version 6
	.section	.text._ZN9rocsparseL14nnz_kernel_rowILi64ELi16EiiDF16_EEv16rocsparse_order_T2_S2_PKT3_lPT1_,"axG",@progbits,_ZN9rocsparseL14nnz_kernel_rowILi64ELi16EiiDF16_EEv16rocsparse_order_T2_S2_PKT3_lPT1_,comdat
	.globl	_ZN9rocsparseL14nnz_kernel_rowILi64ELi16EiiDF16_EEv16rocsparse_order_T2_S2_PKT3_lPT1_ ; -- Begin function _ZN9rocsparseL14nnz_kernel_rowILi64ELi16EiiDF16_EEv16rocsparse_order_T2_S2_PKT3_lPT1_
	.p2align	8
	.type	_ZN9rocsparseL14nnz_kernel_rowILi64ELi16EiiDF16_EEv16rocsparse_order_T2_S2_PKT3_lPT1_,@function
_ZN9rocsparseL14nnz_kernel_rowILi64ELi16EiiDF16_EEv16rocsparse_order_T2_S2_PKT3_lPT1_: ; @_ZN9rocsparseL14nnz_kernel_rowILi64ELi16EiiDF16_EEv16rocsparse_order_T2_S2_PKT3_lPT1_
; %bb.0:
	s_load_dword s0, s[4:5], 0x34
	s_load_dwordx2 s[10:11], s[4:5], 0x20
	s_load_dwordx8 s[12:19], s[4:5], 0x0
	s_waitcnt lgkmcnt(0)
	s_lshl_b32 s15, s6, 8
	v_mov_b32_e32 v4, 0
	s_and_b32 s0, s0, 0xffff
	v_mad_u32_u24 v15, v1, s0, v0
	s_ashr_i32 s0, s14, 31
	s_lshr_b32 s0, s0, 26
	v_and_b32_e32 v16, 63, v15
	s_add_i32 s33, s14, s0
	v_lshrrev_b32_e32 v0, 4, v15
	v_or_b32_e32 v11, s15, v16
	s_andn2_b32 s33, s33, 63
	v_and_b32_e32 v9, 0x7ffffc, v0
	v_mov_b32_e32 v5, v4
	v_mov_b32_e32 v6, v4
	;; [unrolled: 1-line block ×4, first 2 shown]
	v_cmp_gt_i32_e32 vcc, s33, v9
	v_or_b32_e32 v17, 64, v11
	v_mov_b32_e32 v1, v5
	v_mov_b32_e32 v2, v6
	;; [unrolled: 1-line block ×3, first 2 shown]
	s_and_saveexec_b64 s[20:21], vcc
	s_cbranch_execz .LBB0_28
; %bb.1:
	v_lshrrev_b32_e32 v14, 6, v15
	v_add_u32_e32 v0, s15, v16
	v_lshlrev_b32_e32 v20, 2, v14
	v_ashrrev_i32_e32 v1, 31, v0
	v_or_b32_e32 v10, 3, v20
	v_mul_lo_u32 v7, s18, v1
	v_mul_lo_u32 v8, s19, v0
	v_mad_u64_u32 v[2:3], s[0:1], s18, v0, 0
	v_mad_u64_u32 v[5:6], s[0:1], s18, v10, 0
	v_add3_u32 v3, v3, v7, v8
	v_or_b32_e32 v12, 2, v20
	v_mad_u64_u32 v[6:7], s[0:1], s19, v10, v[6:7]
	v_add_u32_e32 v10, 64, v0
	v_ashrrev_i32_e32 v7, 31, v10
	v_mul_lo_u32 v21, s18, v7
	v_mad_u64_u32 v[7:8], s[0:1], s18, v12, 0
	v_mul_lo_u32 v22, s19, v10
	v_mad_u64_u32 v[18:19], s[0:1], s18, v10, 0
	v_mad_u64_u32 v[12:13], s[0:1], s19, v12, v[8:9]
	v_add3_u32 v19, v19, v21, v22
	v_add_u32_e32 v21, 0x80, v0
	v_mov_b32_e32 v8, v12
	v_mov_b32_e32 v12, s18
	;; [unrolled: 1-line block ×3, first 2 shown]
	v_mad_u64_u32 v[24:25], s[0:1], s18, v20, v[12:13]
	v_ashrrev_i32_e32 v10, 31, v21
	v_mul_lo_u32 v26, s18, v10
	v_mov_b32_e32 v10, v25
	v_mad_u64_u32 v[12:13], s[0:1], s19, v20, v[10:11]
	v_mul_lo_u32 v27, s19, v21
	v_mad_u64_u32 v[22:23], s[0:1], s18, v21, 0
	v_add_u32_e32 v10, 0xc0, v0
	v_mov_b32_e32 v25, v12
	v_ashrrev_i32_e32 v12, 31, v10
	v_mad_u64_u32 v[28:29], s[0:1], s18, v14, 0
	v_add3_u32 v23, v23, v26, v27
	v_mul_lo_u32 v12, s18, v12
	v_mul_lo_u32 v13, s19, v10
	v_mad_u64_u32 v[26:27], s[0:1], s18, v10, 0
	v_mov_b32_e32 v10, v29
	v_lshlrev_b64 v[2:3], 1, v[2:3]
	v_add3_u32 v27, v27, v12, v13
	v_mad_u64_u32 v[12:13], s[0:1], s19, v14, v[10:11]
	v_or_b32_e32 v10, 0x80, v11
	v_cmp_gt_i32_e64 s[0:1], s13, v10
	v_or_b32_e32 v10, 0xc0, v11
	v_lshlrev_b32_e32 v30, 3, v14
	v_cmp_gt_i32_e64 s[2:3], s13, v10
	v_add_co_u32_e32 v10, vcc, v2, v30
	v_mov_b32_e32 v29, v12
	v_addc_co_u32_e32 v12, vcc, 0, v3, vcc
	v_lshlrev_b64 v[2:3], 1, v[5:6]
	v_lshlrev_b64 v[0:1], 1, v[0:1]
	s_cmp_lg_u32 s12, 1
	v_add_co_u32_e32 v13, vcc, v2, v0
	v_addc_co_u32_e32 v14, vcc, v3, v1, vcc
	v_lshlrev_b64 v[2:3], 1, v[18:19]
	v_mov_b32_e32 v5, v4
	v_add_co_u32_e32 v18, vcc, v2, v30
	v_addc_co_u32_e32 v19, vcc, 0, v3, vcc
	v_lshlrev_b64 v[2:3], 1, v[7:8]
	v_mov_b32_e32 v6, v4
	;; [unrolled: 4-line block ×3, first 2 shown]
	v_add_co_u32_e32 v22, vcc, v2, v30
	v_addc_co_u32_e32 v23, vcc, 0, v3, vcc
	v_lshlrev_b64 v[2:3], 1, v[24:25]
	s_cselect_b64 s[22:23], -1, 0
	v_add_co_u32_e32 v24, vcc, v2, v0
	v_addc_co_u32_e32 v25, vcc, v3, v1, vcc
	v_lshlrev_b64 v[2:3], 1, v[26:27]
	v_cmp_gt_i32_e64 s[4:5], s13, v11
	v_add_co_u32_e32 v26, vcc, v2, v30
	v_addc_co_u32_e32 v27, vcc, 0, v3, vcc
	v_lshlrev_b64 v[2:3], 3, v[28:29]
	v_cmp_gt_i32_e64 s[6:7], s13, v17
	v_add_co_u32_e32 v28, vcc, v2, v0
	v_addc_co_u32_e32 v29, vcc, v3, v1, vcc
	v_mov_b32_e32 v0, v4
	s_lshl_b64 s[24:25], s[18:19], 7
	s_mov_b64 s[26:27], 0
	v_mov_b32_e32 v1, v5
	v_mov_b32_e32 v2, v6
	;; [unrolled: 1-line block ×3, first 2 shown]
	s_branch .LBB0_4
.LBB0_2:                                ;   in Loop: Header=BB0_4 Depth=1
	v_mov_b32_e32 v0, v5
	v_mov_b32_e32 v1, v6
	;; [unrolled: 1-line block ×4, first 2 shown]
.LBB0_3:                                ;   in Loop: Header=BB0_4 Depth=1
	s_or_b64 exec, exec, s[28:29]
	v_add_co_u32_e32 v10, vcc, 0x80, v10
	v_addc_co_u32_e32 v12, vcc, 0, v12, vcc
	v_mov_b32_e32 v5, s25
	v_add_co_u32_e32 v13, vcc, s24, v13
	v_addc_co_u32_e32 v14, vcc, v14, v5, vcc
	v_add_co_u32_e32 v18, vcc, 0x80, v18
	v_addc_co_u32_e32 v19, vcc, 0, v19, vcc
	;; [unrolled: 2-line block ×5, first 2 shown]
	v_add_co_u32_e32 v26, vcc, 0x80, v26
	v_add_u32_e32 v9, 64, v9
	v_addc_co_u32_e32 v27, vcc, 0, v27, vcc
	v_cmp_le_i32_e32 vcc, s33, v9
	s_or_b64 s[26:27], vcc, s[26:27]
	v_add_co_u32_e32 v28, vcc, s24, v28
	v_addc_co_u32_e32 v29, vcc, v29, v5, vcc
	s_andn2_b64 exec, exec, s[26:27]
	s_cbranch_execz .LBB0_27
.LBB0_4:                                ; =>This Inner Loop Header: Depth=1
	v_cndmask_b32_e64 v5, 0, 1, s[22:23]
	v_cmp_ne_u32_e64 s[8:9], 1, v5
	s_and_saveexec_b64 s[28:29], s[4:5]
	s_cbranch_execnz .LBB0_8
; %bb.5:                                ;   in Loop: Header=BB0_4 Depth=1
	s_or_b64 exec, exec, s[28:29]
	s_and_saveexec_b64 s[28:29], s[6:7]
	s_cbranch_execnz .LBB0_13
.LBB0_6:                                ;   in Loop: Header=BB0_4 Depth=1
	s_or_b64 exec, exec, s[28:29]
	s_and_saveexec_b64 s[28:29], s[0:1]
	s_cbranch_execnz .LBB0_18
.LBB0_7:                                ;   in Loop: Header=BB0_4 Depth=1
	s_or_b64 exec, exec, s[28:29]
	s_and_saveexec_b64 s[28:29], s[2:3]
	s_cbranch_execz .LBB0_3
	s_branch .LBB0_23
.LBB0_8:                                ;   in Loop: Header=BB0_4 Depth=1
	s_mov_b64 s[30:31], -1
	s_and_b64 vcc, exec, s[8:9]
	v_add_u32_e32 v30, 1, v0
                                        ; implicit-def: $vgpr5_vgpr6_vgpr7_vgpr8
	s_cbranch_vccnz .LBB0_10
; %bb.9:                                ;   in Loop: Header=BB0_4 Depth=1
	v_add_co_u32_e32 v5, vcc, s16, v10
	v_mov_b32_e32 v6, s17
	v_addc_co_u32_e32 v6, vcc, v6, v12, vcc
	global_load_dwordx2 v[5:6], v[5:6], off
	v_mov_b32_e32 v8, v3
	s_mov_b64 s[30:31], 0
	s_waitcnt vmcnt(0)
	v_cmp_neq_f16_e32 vcc, 0, v5
	v_cndmask_b32_e32 v7, v0, v30, vcc
	v_cmp_neq_f16_sdwa vcc, v5, v4 src0_sel:WORD_1 src1_sel:DWORD
	v_add_u32_e32 v5, 1, v7
	v_cndmask_b32_e32 v5, v7, v5, vcc
	v_cmp_neq_f16_e32 vcc, 0, v6
	v_add_u32_e32 v7, 1, v5
	v_cndmask_b32_e32 v5, v5, v7, vcc
	v_cmp_neq_f16_sdwa vcc, v6, v4 src0_sel:WORD_1 src1_sel:DWORD
	v_add_u32_e32 v6, 1, v5
	v_cndmask_b32_e32 v5, v5, v6, vcc
	v_mov_b32_e32 v6, v1
	v_mov_b32_e32 v7, v2
.LBB0_10:                               ;   in Loop: Header=BB0_4 Depth=1
	s_andn2_b64 vcc, exec, s[30:31]
	s_cbranch_vccnz .LBB0_12
; %bb.11:                               ;   in Loop: Header=BB0_4 Depth=1
	v_add_co_u32_e32 v5, vcc, s16, v28
	v_mov_b32_e32 v6, s17
	v_addc_co_u32_e32 v6, vcc, v6, v29, vcc
	global_load_ushort v5, v[5:6], off
	v_mov_b32_e32 v6, s17
	s_waitcnt vmcnt(0)
	v_cmp_neq_f16_e32 vcc, 0, v5
	v_cndmask_b32_e32 v0, v0, v30, vcc
	v_add_co_u32_e32 v5, vcc, s16, v24
	v_addc_co_u32_e32 v6, vcc, v6, v25, vcc
	global_load_ushort v5, v[5:6], off
	v_mov_b32_e32 v6, s17
	s_waitcnt vmcnt(0)
	v_cmp_neq_f16_e32 vcc, 0, v5
	v_add_u32_e32 v5, 1, v0
	v_cndmask_b32_e32 v0, v0, v5, vcc
	v_add_co_u32_e32 v5, vcc, s16, v20
	v_addc_co_u32_e32 v6, vcc, v6, v21, vcc
	global_load_ushort v5, v[5:6], off
	v_mov_b32_e32 v6, s17
	s_waitcnt vmcnt(0)
	v_cmp_neq_f16_e32 vcc, 0, v5
	v_add_u32_e32 v5, 1, v0
	v_cndmask_b32_e32 v0, v0, v5, vcc
	v_add_co_u32_e32 v5, vcc, s16, v13
	v_addc_co_u32_e32 v6, vcc, v6, v14, vcc
	global_load_ushort v5, v[5:6], off
	s_waitcnt vmcnt(0)
	v_cmp_neq_f16_e32 vcc, 0, v5
	v_add_u32_e32 v5, 1, v0
	v_cndmask_b32_e32 v0, v0, v5, vcc
	v_mov_b32_e32 v8, v3
	v_mov_b32_e32 v7, v2
	;; [unrolled: 1-line block ×4, first 2 shown]
.LBB0_12:                               ;   in Loop: Header=BB0_4 Depth=1
	v_mov_b32_e32 v0, v5
	v_mov_b32_e32 v1, v6
	;; [unrolled: 1-line block ×4, first 2 shown]
	s_or_b64 exec, exec, s[28:29]
	s_and_saveexec_b64 s[28:29], s[6:7]
	s_cbranch_execz .LBB0_6
.LBB0_13:                               ;   in Loop: Header=BB0_4 Depth=1
	s_mov_b64 s[30:31], -1
	s_and_b64 vcc, exec, s[8:9]
	v_add_u32_e32 v30, 1, v1
                                        ; implicit-def: $vgpr5_vgpr6_vgpr7_vgpr8
	s_cbranch_vccnz .LBB0_15
; %bb.14:                               ;   in Loop: Header=BB0_4 Depth=1
	v_add_co_u32_e32 v5, vcc, s16, v18
	v_mov_b32_e32 v6, s17
	v_addc_co_u32_e32 v6, vcc, v6, v19, vcc
	global_load_dwordx2 v[5:6], v[5:6], off
	v_mov_b32_e32 v8, v3
	s_mov_b64 s[30:31], 0
	s_waitcnt vmcnt(0)
	v_cmp_neq_f16_e32 vcc, 0, v5
	v_cndmask_b32_e32 v7, v1, v30, vcc
	v_cmp_neq_f16_sdwa vcc, v5, v4 src0_sel:WORD_1 src1_sel:DWORD
	v_add_u32_e32 v5, 1, v7
	v_cndmask_b32_e32 v5, v7, v5, vcc
	v_cmp_neq_f16_e32 vcc, 0, v6
	v_add_u32_e32 v7, 1, v5
	v_cndmask_b32_e32 v5, v5, v7, vcc
	v_cmp_neq_f16_sdwa vcc, v6, v4 src0_sel:WORD_1 src1_sel:DWORD
	v_add_u32_e32 v6, 1, v5
	v_cndmask_b32_e32 v6, v5, v6, vcc
	v_mov_b32_e32 v5, v0
	v_mov_b32_e32 v7, v2
.LBB0_15:                               ;   in Loop: Header=BB0_4 Depth=1
	s_andn2_b64 vcc, exec, s[30:31]
	s_cbranch_vccnz .LBB0_17
; %bb.16:                               ;   in Loop: Header=BB0_4 Depth=1
	v_add_co_u32_e32 v5, vcc, s16, v28
	v_mov_b32_e32 v6, s17
	v_addc_co_u32_e32 v6, vcc, v6, v29, vcc
	global_load_ushort v5, v[5:6], off offset:128
	v_mov_b32_e32 v6, s17
	s_waitcnt vmcnt(0)
	v_cmp_neq_f16_e32 vcc, 0, v5
	v_cndmask_b32_e32 v1, v1, v30, vcc
	v_add_co_u32_e32 v5, vcc, s16, v24
	v_addc_co_u32_e32 v6, vcc, v6, v25, vcc
	global_load_ushort v5, v[5:6], off offset:128
	v_mov_b32_e32 v6, s17
	s_waitcnt vmcnt(0)
	v_cmp_neq_f16_e32 vcc, 0, v5
	v_add_u32_e32 v5, 1, v1
	v_cndmask_b32_e32 v1, v1, v5, vcc
	v_add_co_u32_e32 v5, vcc, s16, v20
	v_addc_co_u32_e32 v6, vcc, v6, v21, vcc
	global_load_ushort v5, v[5:6], off offset:128
	v_mov_b32_e32 v6, s17
	s_waitcnt vmcnt(0)
	v_cmp_neq_f16_e32 vcc, 0, v5
	v_add_u32_e32 v5, 1, v1
	v_cndmask_b32_e32 v1, v1, v5, vcc
	v_add_co_u32_e32 v5, vcc, s16, v13
	v_addc_co_u32_e32 v6, vcc, v6, v14, vcc
	global_load_ushort v5, v[5:6], off offset:128
	s_waitcnt vmcnt(0)
	v_cmp_neq_f16_e32 vcc, 0, v5
	v_add_u32_e32 v5, 1, v1
	v_cndmask_b32_e32 v1, v1, v5, vcc
	v_mov_b32_e32 v8, v3
	v_mov_b32_e32 v7, v2
	;; [unrolled: 1-line block ×4, first 2 shown]
.LBB0_17:                               ;   in Loop: Header=BB0_4 Depth=1
	v_mov_b32_e32 v0, v5
	v_mov_b32_e32 v1, v6
	v_mov_b32_e32 v2, v7
	v_mov_b32_e32 v3, v8
	s_or_b64 exec, exec, s[28:29]
	s_and_saveexec_b64 s[28:29], s[0:1]
	s_cbranch_execz .LBB0_7
.LBB0_18:                               ;   in Loop: Header=BB0_4 Depth=1
	s_mov_b64 s[30:31], -1
	s_and_b64 vcc, exec, s[8:9]
	v_add_u32_e32 v30, 1, v2
                                        ; implicit-def: $vgpr5_vgpr6_vgpr7_vgpr8
	s_cbranch_vccnz .LBB0_20
; %bb.19:                               ;   in Loop: Header=BB0_4 Depth=1
	v_add_co_u32_e32 v5, vcc, s16, v22
	v_mov_b32_e32 v6, s17
	v_addc_co_u32_e32 v6, vcc, v6, v23, vcc
	global_load_dwordx2 v[5:6], v[5:6], off
	v_mov_b32_e32 v8, v3
	s_mov_b64 s[30:31], 0
	s_waitcnt vmcnt(0)
	v_cmp_neq_f16_e32 vcc, 0, v5
	v_cndmask_b32_e32 v7, v2, v30, vcc
	v_cmp_neq_f16_sdwa vcc, v5, v4 src0_sel:WORD_1 src1_sel:DWORD
	v_add_u32_e32 v5, 1, v7
	v_cndmask_b32_e32 v5, v7, v5, vcc
	v_cmp_neq_f16_e32 vcc, 0, v6
	v_add_u32_e32 v7, 1, v5
	v_cndmask_b32_e32 v5, v5, v7, vcc
	v_cmp_neq_f16_sdwa vcc, v6, v4 src0_sel:WORD_1 src1_sel:DWORD
	v_add_u32_e32 v6, 1, v5
	v_cndmask_b32_e32 v7, v5, v6, vcc
	v_mov_b32_e32 v5, v0
	v_mov_b32_e32 v6, v1
.LBB0_20:                               ;   in Loop: Header=BB0_4 Depth=1
	s_andn2_b64 vcc, exec, s[30:31]
	s_cbranch_vccnz .LBB0_22
; %bb.21:                               ;   in Loop: Header=BB0_4 Depth=1
	v_add_co_u32_e32 v5, vcc, s16, v28
	v_mov_b32_e32 v6, s17
	v_addc_co_u32_e32 v6, vcc, v6, v29, vcc
	global_load_ushort v5, v[5:6], off offset:256
	v_mov_b32_e32 v6, s17
	s_waitcnt vmcnt(0)
	v_cmp_neq_f16_e32 vcc, 0, v5
	v_cndmask_b32_e32 v2, v2, v30, vcc
	v_add_co_u32_e32 v5, vcc, s16, v24
	v_addc_co_u32_e32 v6, vcc, v6, v25, vcc
	global_load_ushort v5, v[5:6], off offset:256
	v_mov_b32_e32 v6, s17
	s_waitcnt vmcnt(0)
	v_cmp_neq_f16_e32 vcc, 0, v5
	v_add_u32_e32 v5, 1, v2
	v_cndmask_b32_e32 v2, v2, v5, vcc
	v_add_co_u32_e32 v5, vcc, s16, v20
	v_addc_co_u32_e32 v6, vcc, v6, v21, vcc
	global_load_ushort v5, v[5:6], off offset:256
	v_mov_b32_e32 v6, s17
	s_waitcnt vmcnt(0)
	v_cmp_neq_f16_e32 vcc, 0, v5
	v_add_u32_e32 v5, 1, v2
	v_cndmask_b32_e32 v2, v2, v5, vcc
	v_add_co_u32_e32 v5, vcc, s16, v13
	v_addc_co_u32_e32 v6, vcc, v6, v14, vcc
	global_load_ushort v5, v[5:6], off offset:256
	s_waitcnt vmcnt(0)
	v_cmp_neq_f16_e32 vcc, 0, v5
	v_add_u32_e32 v5, 1, v2
	v_cndmask_b32_e32 v2, v2, v5, vcc
	v_mov_b32_e32 v8, v3
	v_mov_b32_e32 v7, v2
	;; [unrolled: 1-line block ×4, first 2 shown]
.LBB0_22:                               ;   in Loop: Header=BB0_4 Depth=1
	v_mov_b32_e32 v0, v5
	v_mov_b32_e32 v1, v6
	;; [unrolled: 1-line block ×4, first 2 shown]
	s_or_b64 exec, exec, s[28:29]
	s_and_saveexec_b64 s[28:29], s[2:3]
	s_cbranch_execz .LBB0_3
.LBB0_23:                               ;   in Loop: Header=BB0_4 Depth=1
	s_mov_b64 s[30:31], -1
	s_and_b64 vcc, exec, s[8:9]
	v_add_u32_e32 v30, 1, v3
                                        ; implicit-def: $vgpr5_vgpr6_vgpr7_vgpr8
	s_cbranch_vccnz .LBB0_25
; %bb.24:                               ;   in Loop: Header=BB0_4 Depth=1
	v_add_co_u32_e32 v5, vcc, s16, v26
	v_mov_b32_e32 v6, s17
	v_addc_co_u32_e32 v6, vcc, v6, v27, vcc
	global_load_dwordx2 v[5:6], v[5:6], off
	s_mov_b64 s[30:31], 0
	s_waitcnt vmcnt(0)
	v_cmp_neq_f16_e32 vcc, 0, v5
	v_cndmask_b32_e32 v7, v3, v30, vcc
	v_cmp_neq_f16_sdwa vcc, v5, v4 src0_sel:WORD_1 src1_sel:DWORD
	v_add_u32_e32 v5, 1, v7
	v_cndmask_b32_e32 v5, v7, v5, vcc
	v_cmp_neq_f16_e32 vcc, 0, v6
	v_add_u32_e32 v7, 1, v5
	v_cndmask_b32_e32 v5, v5, v7, vcc
	v_cmp_neq_f16_sdwa vcc, v6, v4 src0_sel:WORD_1 src1_sel:DWORD
	v_add_u32_e32 v6, 1, v5
	v_cndmask_b32_e32 v8, v5, v6, vcc
	v_mov_b32_e32 v5, v0
	v_mov_b32_e32 v6, v1
	;; [unrolled: 1-line block ×3, first 2 shown]
.LBB0_25:                               ;   in Loop: Header=BB0_4 Depth=1
	s_andn2_b64 vcc, exec, s[30:31]
	s_cbranch_vccnz .LBB0_2
; %bb.26:                               ;   in Loop: Header=BB0_4 Depth=1
	v_add_co_u32_e32 v5, vcc, s16, v28
	v_mov_b32_e32 v6, s17
	v_addc_co_u32_e32 v6, vcc, v6, v29, vcc
	global_load_ushort v5, v[5:6], off offset:384
	v_mov_b32_e32 v6, s17
	s_waitcnt vmcnt(0)
	v_cmp_neq_f16_e32 vcc, 0, v5
	v_cndmask_b32_e32 v3, v3, v30, vcc
	v_add_co_u32_e32 v5, vcc, s16, v24
	v_addc_co_u32_e32 v6, vcc, v6, v25, vcc
	global_load_ushort v5, v[5:6], off offset:384
	v_mov_b32_e32 v6, s17
	s_waitcnt vmcnt(0)
	v_cmp_neq_f16_e32 vcc, 0, v5
	v_add_u32_e32 v5, 1, v3
	v_cndmask_b32_e32 v3, v3, v5, vcc
	v_add_co_u32_e32 v5, vcc, s16, v20
	v_addc_co_u32_e32 v6, vcc, v6, v21, vcc
	global_load_ushort v5, v[5:6], off offset:384
	v_mov_b32_e32 v6, s17
	s_waitcnt vmcnt(0)
	v_cmp_neq_f16_e32 vcc, 0, v5
	v_add_u32_e32 v5, 1, v3
	v_cndmask_b32_e32 v3, v3, v5, vcc
	v_add_co_u32_e32 v5, vcc, s16, v13
	v_addc_co_u32_e32 v6, vcc, v6, v14, vcc
	global_load_ushort v5, v[5:6], off offset:384
	s_waitcnt vmcnt(0)
	v_cmp_neq_f16_e32 vcc, 0, v5
	v_add_u32_e32 v5, 1, v3
	v_cndmask_b32_e32 v3, v3, v5, vcc
	v_mov_b32_e32 v8, v3
	v_mov_b32_e32 v7, v2
	;; [unrolled: 1-line block ×4, first 2 shown]
	s_branch .LBB0_2
.LBB0_27:
	s_or_b64 exec, exec, s[26:27]
.LBB0_28:
	s_or_b64 exec, exec, s[20:21]
	s_sub_i32 s0, s14, s33
	s_cmp_lt_i32 s0, 1
	s_cbranch_scc1 .LBB0_134
; %bb.29:
	v_mov_b32_e32 v10, 0
	v_lshlrev_b64 v[4:5], 1, v[9:10]
	v_mov_b32_e32 v6, s17
	v_add_co_u32_e32 v8, vcc, s16, v4
	s_cmp_lg_u32 s12, 1
	v_addc_co_u32_e32 v10, vcc, v6, v5, vcc
	s_cselect_b64 s[0:1], -1, 0
	v_cmp_gt_i32_e32 vcc, s13, v11
	v_ashrrev_i32_e32 v12, 31, v11
	s_and_saveexec_b64 s[2:3], vcc
	s_cbranch_execz .LBB0_55
; %bb.30:
	v_mul_lo_u32 v6, s19, v11
	v_mul_lo_u32 v7, s18, v12
	v_mad_u64_u32 v[4:5], s[4:5], s18, v11, 0
	v_add3_u32 v5, v5, v7, v6
	v_lshlrev_b64 v[4:5], 1, v[4:5]
	v_mov_b32_e32 v6, s17
	v_add_co_u32_e32 v13, vcc, v8, v4
	v_addc_co_u32_e32 v14, vcc, v10, v5, vcc
	v_lshlrev_b64 v[4:5], 1, v[11:12]
	v_add_co_u32_e32 v18, vcc, s16, v4
	v_addc_co_u32_e32 v19, vcc, v6, v5, vcc
	v_cmp_gt_i32_e32 vcc, s14, v9
	s_and_saveexec_b64 s[4:5], vcc
	s_cbranch_execz .LBB0_36
; %bb.31:
	s_and_b64 vcc, exec, s[0:1]
	s_cbranch_vccz .LBB0_33
; %bb.32:
	global_load_ushort v20, v[13:14], off
	v_mov_b32_e32 v7, v3
	v_mov_b32_e32 v4, v0
	;; [unrolled: 1-line block ×4, first 2 shown]
	s_waitcnt vmcnt(0)
	v_cmp_neq_f16_e32 vcc, 0, v20
	v_addc_co_u32_e32 v4, vcc, 0, v0, vcc
	s_cbranch_execz .LBB0_34
	s_branch .LBB0_35
.LBB0_33:
                                        ; implicit-def: $vgpr4_vgpr5_vgpr6_vgpr7
.LBB0_34:
	v_mad_u64_u32 v[4:5], s[6:7], s18, v9, 0
	v_mad_u64_u32 v[5:6], s[6:7], s19, v9, v[5:6]
	v_lshlrev_b64 v[4:5], 1, v[4:5]
	v_add_co_u32_e32 v4, vcc, v18, v4
	v_addc_co_u32_e32 v5, vcc, v19, v5, vcc
	global_load_ushort v4, v[4:5], off
	s_waitcnt vmcnt(0)
	v_cmp_neq_f16_e32 vcc, 0, v4
	v_addc_co_u32_e32 v0, vcc, 0, v0, vcc
	v_mov_b32_e32 v7, v3
	v_mov_b32_e32 v6, v2
	;; [unrolled: 1-line block ×4, first 2 shown]
.LBB0_35:
	v_mov_b32_e32 v0, v4
	v_mov_b32_e32 v1, v5
	;; [unrolled: 1-line block ×4, first 2 shown]
.LBB0_36:
	s_or_b64 exec, exec, s[4:5]
	v_or_b32_e32 v20, 1, v9
	v_cmp_gt_i32_e32 vcc, s14, v20
	s_and_saveexec_b64 s[4:5], vcc
	s_cbranch_execz .LBB0_42
; %bb.37:
	s_andn2_b64 vcc, exec, s[0:1]
	s_cbranch_vccnz .LBB0_39
; %bb.38:
	global_load_ushort v21, v[13:14], off offset:2
	v_mov_b32_e32 v7, v3
	v_mov_b32_e32 v4, v0
	v_mov_b32_e32 v6, v2
	v_mov_b32_e32 v5, v1
	s_waitcnt vmcnt(0)
	v_cmp_neq_f16_e32 vcc, 0, v21
	v_addc_co_u32_e32 v4, vcc, 0, v0, vcc
	s_cbranch_execz .LBB0_40
	s_branch .LBB0_41
.LBB0_39:
                                        ; implicit-def: $vgpr4_vgpr5_vgpr6_vgpr7
.LBB0_40:
	v_mad_u64_u32 v[4:5], s[6:7], s18, v20, 0
	v_mad_u64_u32 v[5:6], s[6:7], s19, v20, v[5:6]
	v_lshlrev_b64 v[4:5], 1, v[4:5]
	v_add_co_u32_e32 v4, vcc, v18, v4
	v_addc_co_u32_e32 v5, vcc, v19, v5, vcc
	global_load_ushort v4, v[4:5], off
	s_waitcnt vmcnt(0)
	v_cmp_neq_f16_e32 vcc, 0, v4
	v_addc_co_u32_e32 v0, vcc, 0, v0, vcc
	v_mov_b32_e32 v7, v3
	v_mov_b32_e32 v6, v2
	v_mov_b32_e32 v5, v1
	v_mov_b32_e32 v4, v0
.LBB0_41:
	v_mov_b32_e32 v0, v4
	v_mov_b32_e32 v1, v5
	v_mov_b32_e32 v2, v6
	v_mov_b32_e32 v3, v7
.LBB0_42:
	s_or_b64 exec, exec, s[4:5]
	v_or_b32_e32 v20, 2, v9
	v_cmp_gt_i32_e32 vcc, s14, v20
	s_and_saveexec_b64 s[4:5], vcc
	s_cbranch_execz .LBB0_48
; %bb.43:
	s_andn2_b64 vcc, exec, s[0:1]
	s_cbranch_vccnz .LBB0_45
; %bb.44:
	global_load_ushort v21, v[13:14], off offset:4
	v_mov_b32_e32 v7, v3
	v_mov_b32_e32 v4, v0
	v_mov_b32_e32 v6, v2
	v_mov_b32_e32 v5, v1
	s_waitcnt vmcnt(0)
	v_cmp_neq_f16_e32 vcc, 0, v21
	v_addc_co_u32_e32 v4, vcc, 0, v0, vcc
	s_cbranch_execz .LBB0_46
	s_branch .LBB0_47
.LBB0_45:
                                        ; implicit-def: $vgpr4_vgpr5_vgpr6_vgpr7
.LBB0_46:
	v_mad_u64_u32 v[4:5], s[6:7], s18, v20, 0
	v_mad_u64_u32 v[5:6], s[6:7], s19, v20, v[5:6]
	v_lshlrev_b64 v[4:5], 1, v[4:5]
	v_add_co_u32_e32 v4, vcc, v18, v4
	v_addc_co_u32_e32 v5, vcc, v19, v5, vcc
	global_load_ushort v4, v[4:5], off
	s_waitcnt vmcnt(0)
	v_cmp_neq_f16_e32 vcc, 0, v4
	v_addc_co_u32_e32 v0, vcc, 0, v0, vcc
	v_mov_b32_e32 v7, v3
	v_mov_b32_e32 v6, v2
	v_mov_b32_e32 v5, v1
	v_mov_b32_e32 v4, v0
.LBB0_47:
	v_mov_b32_e32 v0, v4
	v_mov_b32_e32 v1, v5
	v_mov_b32_e32 v2, v6
	v_mov_b32_e32 v3, v7
.LBB0_48:
	;; [unrolled: 41-line block ×3, first 2 shown]
	s_or_b64 exec, exec, s[4:5]
.LBB0_55:
	s_or_b64 exec, exec, s[2:3]
	v_cmp_gt_i32_e32 vcc, s13, v17
	s_and_saveexec_b64 s[2:3], vcc
	s_cbranch_execz .LBB0_81
; %bb.56:
	v_ashrrev_i32_e32 v6, 31, v17
	v_mul_lo_u32 v7, s19, v17
	v_mad_u64_u32 v[4:5], s[4:5], s18, v17, 0
	v_mul_lo_u32 v6, s18, v6
	v_add3_u32 v5, v5, v6, v7
	v_lshlrev_b64 v[4:5], 1, v[4:5]
	v_mov_b32_e32 v6, s17
	v_add_co_u32_e32 v13, vcc, v8, v4
	v_addc_co_u32_e32 v14, vcc, v10, v5, vcc
	v_lshlrev_b64 v[4:5], 1, v[11:12]
	v_add_co_u32_e32 v17, vcc, s16, v4
	v_addc_co_u32_e32 v18, vcc, v6, v5, vcc
	v_cmp_gt_i32_e32 vcc, s14, v9
	s_and_saveexec_b64 s[4:5], vcc
	s_cbranch_execz .LBB0_62
; %bb.57:
	s_andn2_b64 vcc, exec, s[0:1]
	s_cbranch_vccnz .LBB0_59
; %bb.58:
	global_load_ushort v19, v[13:14], off
	v_mov_b32_e32 v7, v3
	v_mov_b32_e32 v5, v1
	;; [unrolled: 1-line block ×4, first 2 shown]
	s_waitcnt vmcnt(0)
	v_cmp_neq_f16_e32 vcc, 0, v19
	v_addc_co_u32_e32 v5, vcc, 0, v1, vcc
	s_cbranch_execz .LBB0_60
	s_branch .LBB0_61
.LBB0_59:
                                        ; implicit-def: $vgpr4_vgpr5_vgpr6_vgpr7
.LBB0_60:
	v_mad_u64_u32 v[4:5], s[6:7], s18, v9, 0
	v_mad_u64_u32 v[5:6], s[6:7], s19, v9, v[5:6]
	v_lshlrev_b64 v[4:5], 1, v[4:5]
	v_add_co_u32_e32 v4, vcc, v17, v4
	v_addc_co_u32_e32 v5, vcc, v18, v5, vcc
	global_load_ushort v4, v[4:5], off offset:128
	s_waitcnt vmcnt(0)
	v_cmp_neq_f16_e32 vcc, 0, v4
	v_addc_co_u32_e32 v1, vcc, 0, v1, vcc
	v_mov_b32_e32 v7, v3
	v_mov_b32_e32 v6, v2
	v_mov_b32_e32 v5, v1
	v_mov_b32_e32 v4, v0
.LBB0_61:
	v_mov_b32_e32 v0, v4
	v_mov_b32_e32 v1, v5
	;; [unrolled: 1-line block ×4, first 2 shown]
.LBB0_62:
	s_or_b64 exec, exec, s[4:5]
	v_or_b32_e32 v19, 1, v9
	v_cmp_gt_i32_e32 vcc, s14, v19
	s_and_saveexec_b64 s[4:5], vcc
	s_cbranch_execz .LBB0_68
; %bb.63:
	s_andn2_b64 vcc, exec, s[0:1]
	s_cbranch_vccnz .LBB0_65
; %bb.64:
	global_load_ushort v20, v[13:14], off offset:2
	v_mov_b32_e32 v7, v3
	v_mov_b32_e32 v5, v1
	v_mov_b32_e32 v6, v2
	v_mov_b32_e32 v4, v0
	s_waitcnt vmcnt(0)
	v_cmp_neq_f16_e32 vcc, 0, v20
	v_addc_co_u32_e32 v5, vcc, 0, v1, vcc
	s_cbranch_execz .LBB0_66
	s_branch .LBB0_67
.LBB0_65:
                                        ; implicit-def: $vgpr4_vgpr5_vgpr6_vgpr7
.LBB0_66:
	v_mad_u64_u32 v[4:5], s[6:7], s18, v19, 0
	v_mad_u64_u32 v[5:6], s[6:7], s19, v19, v[5:6]
	v_lshlrev_b64 v[4:5], 1, v[4:5]
	v_add_co_u32_e32 v4, vcc, v17, v4
	v_addc_co_u32_e32 v5, vcc, v18, v5, vcc
	global_load_ushort v4, v[4:5], off offset:128
	s_waitcnt vmcnt(0)
	v_cmp_neq_f16_e32 vcc, 0, v4
	v_addc_co_u32_e32 v1, vcc, 0, v1, vcc
	v_mov_b32_e32 v7, v3
	v_mov_b32_e32 v6, v2
	v_mov_b32_e32 v5, v1
	v_mov_b32_e32 v4, v0
.LBB0_67:
	v_mov_b32_e32 v0, v4
	v_mov_b32_e32 v1, v5
	v_mov_b32_e32 v2, v6
	v_mov_b32_e32 v3, v7
.LBB0_68:
	s_or_b64 exec, exec, s[4:5]
	v_or_b32_e32 v19, 2, v9
	v_cmp_gt_i32_e32 vcc, s14, v19
	s_and_saveexec_b64 s[4:5], vcc
	s_cbranch_execz .LBB0_74
; %bb.69:
	s_andn2_b64 vcc, exec, s[0:1]
	s_cbranch_vccnz .LBB0_71
; %bb.70:
	global_load_ushort v20, v[13:14], off offset:4
	v_mov_b32_e32 v7, v3
	v_mov_b32_e32 v5, v1
	v_mov_b32_e32 v6, v2
	v_mov_b32_e32 v4, v0
	s_waitcnt vmcnt(0)
	v_cmp_neq_f16_e32 vcc, 0, v20
	v_addc_co_u32_e32 v5, vcc, 0, v1, vcc
	s_cbranch_execz .LBB0_72
	s_branch .LBB0_73
.LBB0_71:
                                        ; implicit-def: $vgpr4_vgpr5_vgpr6_vgpr7
.LBB0_72:
	v_mad_u64_u32 v[4:5], s[6:7], s18, v19, 0
	v_mad_u64_u32 v[5:6], s[6:7], s19, v19, v[5:6]
	v_lshlrev_b64 v[4:5], 1, v[4:5]
	v_add_co_u32_e32 v4, vcc, v17, v4
	v_addc_co_u32_e32 v5, vcc, v18, v5, vcc
	global_load_ushort v4, v[4:5], off offset:128
	s_waitcnt vmcnt(0)
	v_cmp_neq_f16_e32 vcc, 0, v4
	v_addc_co_u32_e32 v1, vcc, 0, v1, vcc
	v_mov_b32_e32 v7, v3
	v_mov_b32_e32 v6, v2
	v_mov_b32_e32 v5, v1
	v_mov_b32_e32 v4, v0
.LBB0_73:
	v_mov_b32_e32 v0, v4
	v_mov_b32_e32 v1, v5
	v_mov_b32_e32 v2, v6
	v_mov_b32_e32 v3, v7
.LBB0_74:
	;; [unrolled: 41-line block ×3, first 2 shown]
	s_or_b64 exec, exec, s[4:5]
.LBB0_81:
	s_or_b64 exec, exec, s[2:3]
	v_or_b32_e32 v4, 0x80, v11
	v_cmp_gt_i32_e32 vcc, s13, v4
	s_and_saveexec_b64 s[2:3], vcc
	s_cbranch_execz .LBB0_107
; %bb.82:
	v_ashrrev_i32_e32 v6, 31, v4
	v_mul_lo_u32 v7, s19, v4
	v_mad_u64_u32 v[4:5], s[4:5], s18, v4, 0
	v_mul_lo_u32 v6, s18, v6
	v_add3_u32 v5, v5, v6, v7
	v_lshlrev_b64 v[4:5], 1, v[4:5]
	v_mov_b32_e32 v6, s17
	v_add_co_u32_e32 v13, vcc, v8, v4
	v_addc_co_u32_e32 v14, vcc, v10, v5, vcc
	v_lshlrev_b64 v[4:5], 1, v[11:12]
	v_add_co_u32_e32 v17, vcc, s16, v4
	v_addc_co_u32_e32 v18, vcc, v6, v5, vcc
	v_cmp_gt_i32_e32 vcc, s14, v9
	s_and_saveexec_b64 s[4:5], vcc
	s_cbranch_execz .LBB0_88
; %bb.83:
	s_andn2_b64 vcc, exec, s[0:1]
	s_cbranch_vccnz .LBB0_85
; %bb.84:
	global_load_ushort v19, v[13:14], off
	v_mov_b32_e32 v7, v3
	v_mov_b32_e32 v6, v2
	;; [unrolled: 1-line block ×4, first 2 shown]
	s_waitcnt vmcnt(0)
	v_cmp_neq_f16_e32 vcc, 0, v19
	v_addc_co_u32_e32 v6, vcc, 0, v2, vcc
	s_cbranch_execz .LBB0_86
	s_branch .LBB0_87
.LBB0_85:
                                        ; implicit-def: $vgpr4_vgpr5_vgpr6_vgpr7
.LBB0_86:
	v_mad_u64_u32 v[4:5], s[6:7], s18, v9, 0
	v_mad_u64_u32 v[5:6], s[6:7], s19, v9, v[5:6]
	v_lshlrev_b64 v[4:5], 1, v[4:5]
	v_add_co_u32_e32 v4, vcc, v17, v4
	v_addc_co_u32_e32 v5, vcc, v18, v5, vcc
	global_load_ushort v4, v[4:5], off offset:256
	s_waitcnt vmcnt(0)
	v_cmp_neq_f16_e32 vcc, 0, v4
	v_addc_co_u32_e32 v2, vcc, 0, v2, vcc
	v_mov_b32_e32 v7, v3
	v_mov_b32_e32 v6, v2
	;; [unrolled: 1-line block ×4, first 2 shown]
.LBB0_87:
	v_mov_b32_e32 v0, v4
	v_mov_b32_e32 v1, v5
	;; [unrolled: 1-line block ×4, first 2 shown]
.LBB0_88:
	s_or_b64 exec, exec, s[4:5]
	v_or_b32_e32 v19, 1, v9
	v_cmp_gt_i32_e32 vcc, s14, v19
	s_and_saveexec_b64 s[4:5], vcc
	s_cbranch_execz .LBB0_94
; %bb.89:
	s_andn2_b64 vcc, exec, s[0:1]
	s_cbranch_vccnz .LBB0_91
; %bb.90:
	global_load_ushort v20, v[13:14], off offset:2
	v_mov_b32_e32 v7, v3
	v_mov_b32_e32 v6, v2
	v_mov_b32_e32 v5, v1
	v_mov_b32_e32 v4, v0
	s_waitcnt vmcnt(0)
	v_cmp_neq_f16_e32 vcc, 0, v20
	v_addc_co_u32_e32 v6, vcc, 0, v2, vcc
	s_cbranch_execz .LBB0_92
	s_branch .LBB0_93
.LBB0_91:
                                        ; implicit-def: $vgpr4_vgpr5_vgpr6_vgpr7
.LBB0_92:
	v_mad_u64_u32 v[4:5], s[6:7], s18, v19, 0
	v_mad_u64_u32 v[5:6], s[6:7], s19, v19, v[5:6]
	v_lshlrev_b64 v[4:5], 1, v[4:5]
	v_add_co_u32_e32 v4, vcc, v17, v4
	v_addc_co_u32_e32 v5, vcc, v18, v5, vcc
	global_load_ushort v4, v[4:5], off offset:256
	s_waitcnt vmcnt(0)
	v_cmp_neq_f16_e32 vcc, 0, v4
	v_addc_co_u32_e32 v2, vcc, 0, v2, vcc
	v_mov_b32_e32 v7, v3
	v_mov_b32_e32 v6, v2
	v_mov_b32_e32 v5, v1
	v_mov_b32_e32 v4, v0
.LBB0_93:
	v_mov_b32_e32 v0, v4
	v_mov_b32_e32 v1, v5
	v_mov_b32_e32 v2, v6
	v_mov_b32_e32 v3, v7
.LBB0_94:
	s_or_b64 exec, exec, s[4:5]
	v_or_b32_e32 v19, 2, v9
	v_cmp_gt_i32_e32 vcc, s14, v19
	s_and_saveexec_b64 s[4:5], vcc
	s_cbranch_execz .LBB0_100
; %bb.95:
	s_andn2_b64 vcc, exec, s[0:1]
	s_cbranch_vccnz .LBB0_97
; %bb.96:
	global_load_ushort v20, v[13:14], off offset:4
	v_mov_b32_e32 v7, v3
	v_mov_b32_e32 v6, v2
	v_mov_b32_e32 v5, v1
	v_mov_b32_e32 v4, v0
	s_waitcnt vmcnt(0)
	v_cmp_neq_f16_e32 vcc, 0, v20
	v_addc_co_u32_e32 v6, vcc, 0, v2, vcc
	s_cbranch_execz .LBB0_98
	s_branch .LBB0_99
.LBB0_97:
                                        ; implicit-def: $vgpr4_vgpr5_vgpr6_vgpr7
.LBB0_98:
	v_mad_u64_u32 v[4:5], s[6:7], s18, v19, 0
	v_mad_u64_u32 v[5:6], s[6:7], s19, v19, v[5:6]
	v_lshlrev_b64 v[4:5], 1, v[4:5]
	v_add_co_u32_e32 v4, vcc, v17, v4
	v_addc_co_u32_e32 v5, vcc, v18, v5, vcc
	global_load_ushort v4, v[4:5], off offset:256
	s_waitcnt vmcnt(0)
	v_cmp_neq_f16_e32 vcc, 0, v4
	v_addc_co_u32_e32 v2, vcc, 0, v2, vcc
	v_mov_b32_e32 v7, v3
	v_mov_b32_e32 v6, v2
	v_mov_b32_e32 v5, v1
	v_mov_b32_e32 v4, v0
.LBB0_99:
	v_mov_b32_e32 v0, v4
	v_mov_b32_e32 v1, v5
	v_mov_b32_e32 v2, v6
	v_mov_b32_e32 v3, v7
.LBB0_100:
	;; [unrolled: 41-line block ×3, first 2 shown]
	s_or_b64 exec, exec, s[4:5]
.LBB0_107:
	s_or_b64 exec, exec, s[2:3]
	v_or_b32_e32 v4, 0xc0, v11
	v_cmp_gt_i32_e32 vcc, s13, v4
	s_and_saveexec_b64 s[2:3], vcc
	s_cbranch_execz .LBB0_133
; %bb.108:
	v_ashrrev_i32_e32 v6, 31, v4
	v_mul_lo_u32 v7, s19, v4
	v_mad_u64_u32 v[4:5], s[4:5], s18, v4, 0
	v_mul_lo_u32 v6, s18, v6
	v_add3_u32 v5, v5, v6, v7
	v_lshlrev_b64 v[4:5], 1, v[4:5]
	v_mov_b32_e32 v6, s17
	v_add_co_u32_e32 v13, vcc, v8, v4
	v_addc_co_u32_e32 v14, vcc, v10, v5, vcc
	v_lshlrev_b64 v[4:5], 1, v[11:12]
	v_add_co_u32_e32 v8, vcc, s16, v4
	v_addc_co_u32_e32 v10, vcc, v6, v5, vcc
	v_cndmask_b32_e64 v4, 0, 1, s[0:1]
	v_cmp_gt_i32_e32 vcc, s14, v9
	v_cmp_ne_u32_e64 s[0:1], 1, v4
	s_and_saveexec_b64 s[4:5], vcc
	s_cbranch_execz .LBB0_114
; %bb.109:
	s_and_b64 vcc, exec, s[0:1]
	s_cbranch_vccnz .LBB0_111
; %bb.110:
	global_load_ushort v11, v[13:14], off
	v_mov_b32_e32 v7, v3
	v_mov_b32_e32 v6, v2
	v_mov_b32_e32 v5, v1
	v_mov_b32_e32 v4, v0
	s_waitcnt vmcnt(0)
	v_cmp_neq_f16_e32 vcc, 0, v11
	v_addc_co_u32_e32 v7, vcc, 0, v3, vcc
	s_cbranch_execz .LBB0_112
	s_branch .LBB0_113
.LBB0_111:
                                        ; implicit-def: $vgpr4_vgpr5_vgpr6_vgpr7
.LBB0_112:
	v_mad_u64_u32 v[4:5], s[6:7], s18, v9, 0
	v_mad_u64_u32 v[5:6], s[6:7], s19, v9, v[5:6]
	v_lshlrev_b64 v[4:5], 1, v[4:5]
	v_add_co_u32_e32 v4, vcc, v8, v4
	v_addc_co_u32_e32 v5, vcc, v10, v5, vcc
	global_load_ushort v4, v[4:5], off offset:384
	s_waitcnt vmcnt(0)
	v_cmp_neq_f16_e32 vcc, 0, v4
	v_addc_co_u32_e32 v3, vcc, 0, v3, vcc
	v_mov_b32_e32 v7, v3
	v_mov_b32_e32 v6, v2
	;; [unrolled: 1-line block ×4, first 2 shown]
.LBB0_113:
	v_mov_b32_e32 v0, v4
	v_mov_b32_e32 v1, v5
	;; [unrolled: 1-line block ×4, first 2 shown]
.LBB0_114:
	s_or_b64 exec, exec, s[4:5]
	v_or_b32_e32 v11, 1, v9
	v_cmp_gt_i32_e32 vcc, s14, v11
	s_and_saveexec_b64 s[4:5], vcc
	s_cbranch_execz .LBB0_120
; %bb.115:
	s_and_b64 vcc, exec, s[0:1]
	s_cbranch_vccnz .LBB0_117
; %bb.116:
	global_load_ushort v12, v[13:14], off offset:2
	v_mov_b32_e32 v7, v3
	v_mov_b32_e32 v6, v2
	v_mov_b32_e32 v5, v1
	v_mov_b32_e32 v4, v0
	s_waitcnt vmcnt(0)
	v_cmp_neq_f16_e32 vcc, 0, v12
	v_addc_co_u32_e32 v7, vcc, 0, v3, vcc
	s_cbranch_execz .LBB0_118
	s_branch .LBB0_119
.LBB0_117:
                                        ; implicit-def: $vgpr4_vgpr5_vgpr6_vgpr7
.LBB0_118:
	v_mad_u64_u32 v[4:5], s[6:7], s18, v11, 0
	v_mad_u64_u32 v[5:6], s[6:7], s19, v11, v[5:6]
	v_lshlrev_b64 v[4:5], 1, v[4:5]
	v_add_co_u32_e32 v4, vcc, v8, v4
	v_addc_co_u32_e32 v5, vcc, v10, v5, vcc
	global_load_ushort v4, v[4:5], off offset:384
	s_waitcnt vmcnt(0)
	v_cmp_neq_f16_e32 vcc, 0, v4
	v_addc_co_u32_e32 v3, vcc, 0, v3, vcc
	v_mov_b32_e32 v7, v3
	v_mov_b32_e32 v6, v2
	v_mov_b32_e32 v5, v1
	v_mov_b32_e32 v4, v0
.LBB0_119:
	v_mov_b32_e32 v0, v4
	v_mov_b32_e32 v1, v5
	v_mov_b32_e32 v2, v6
	v_mov_b32_e32 v3, v7
.LBB0_120:
	s_or_b64 exec, exec, s[4:5]
	v_or_b32_e32 v11, 2, v9
	v_cmp_gt_i32_e32 vcc, s14, v11
	s_and_saveexec_b64 s[4:5], vcc
	s_cbranch_execz .LBB0_126
; %bb.121:
	s_and_b64 vcc, exec, s[0:1]
	s_cbranch_vccnz .LBB0_123
; %bb.122:
	global_load_ushort v12, v[13:14], off offset:4
	v_mov_b32_e32 v7, v3
	v_mov_b32_e32 v6, v2
	v_mov_b32_e32 v5, v1
	v_mov_b32_e32 v4, v0
	s_waitcnt vmcnt(0)
	v_cmp_neq_f16_e32 vcc, 0, v12
	v_addc_co_u32_e32 v7, vcc, 0, v3, vcc
	s_cbranch_execz .LBB0_124
	s_branch .LBB0_125
.LBB0_123:
                                        ; implicit-def: $vgpr4_vgpr5_vgpr6_vgpr7
.LBB0_124:
	v_mad_u64_u32 v[4:5], s[6:7], s18, v11, 0
	v_mad_u64_u32 v[5:6], s[6:7], s19, v11, v[5:6]
	v_lshlrev_b64 v[4:5], 1, v[4:5]
	v_add_co_u32_e32 v4, vcc, v8, v4
	v_addc_co_u32_e32 v5, vcc, v10, v5, vcc
	global_load_ushort v4, v[4:5], off offset:384
	s_waitcnt vmcnt(0)
	v_cmp_neq_f16_e32 vcc, 0, v4
	v_addc_co_u32_e32 v3, vcc, 0, v3, vcc
	v_mov_b32_e32 v7, v3
	v_mov_b32_e32 v6, v2
	v_mov_b32_e32 v5, v1
	v_mov_b32_e32 v4, v0
.LBB0_125:
	v_mov_b32_e32 v0, v4
	v_mov_b32_e32 v1, v5
	v_mov_b32_e32 v2, v6
	v_mov_b32_e32 v3, v7
.LBB0_126:
	;; [unrolled: 41-line block ×3, first 2 shown]
	s_or_b64 exec, exec, s[4:5]
.LBB0_133:
	s_or_b64 exec, exec, s[2:3]
.LBB0_134:
	v_lshlrev_b32_e32 v4, 4, v15
	v_lshlrev_b32_e32 v5, 2, v16
	s_mov_b32 s0, 0x7ffffc00
	v_and_or_b32 v4, v4, s0, v5
	s_movk_i32 s0, 0x100
	v_cmp_gt_u32_e32 vcc, s0, v15
	ds_write2st64_b32 v4, v0, v1 offset1:1
	ds_write2st64_b32 v4, v2, v3 offset0:2 offset1:3
	s_waitcnt lgkmcnt(0)
	s_barrier
	s_and_saveexec_b64 s[0:1], vcc
	s_cbranch_execz .LBB0_137
; %bb.135:
	v_lshlrev_b32_e32 v11, 2, v15
	ds_read2st64_b32 v[1:2], v11 offset1:4
	ds_read2st64_b32 v[3:4], v11 offset0:8 offset1:12
	ds_read2st64_b32 v[5:6], v11 offset0:16 offset1:20
	;; [unrolled: 1-line block ×3, first 2 shown]
	v_add_u32_e32 v0, s15, v15
	s_waitcnt lgkmcnt(3)
	v_add_u32_e32 v1, v1, v2
	s_waitcnt lgkmcnt(2)
	v_add3_u32 v1, v1, v3, v4
	s_waitcnt lgkmcnt(1)
	v_add3_u32 v12, v1, v5, v6
	ds_read2st64_b32 v[1:2], v11 offset0:32 offset1:36
	ds_read2st64_b32 v[3:4], v11 offset0:40 offset1:44
	;; [unrolled: 1-line block ×4, first 2 shown]
	s_waitcnt lgkmcnt(4)
	v_add3_u32 v7, v12, v7, v8
	s_waitcnt lgkmcnt(3)
	v_add3_u32 v1, v7, v1, v2
	;; [unrolled: 2-line block ×5, first 2 shown]
	v_cmp_gt_i32_e32 vcc, s13, v0
	ds_write_b32 v11, v2
	s_and_b64 exec, exec, vcc
	s_cbranch_execz .LBB0_137
; %bb.136:
	v_ashrrev_i32_e32 v1, 31, v0
	v_lshlrev_b64 v[0:1], 2, v[0:1]
	v_mov_b32_e32 v3, s11
	v_add_co_u32_e32 v0, vcc, s10, v0
	v_addc_co_u32_e32 v1, vcc, v3, v1, vcc
	global_store_dword v[0:1], v2, off
.LBB0_137:
	s_endpgm
	.section	.rodata,"a",@progbits
	.p2align	6, 0x0
	.amdhsa_kernel _ZN9rocsparseL14nnz_kernel_rowILi64ELi16EiiDF16_EEv16rocsparse_order_T2_S2_PKT3_lPT1_
		.amdhsa_group_segment_fixed_size 16384
		.amdhsa_private_segment_fixed_size 0
		.amdhsa_kernarg_size 296
		.amdhsa_user_sgpr_count 6
		.amdhsa_user_sgpr_private_segment_buffer 1
		.amdhsa_user_sgpr_dispatch_ptr 0
		.amdhsa_user_sgpr_queue_ptr 0
		.amdhsa_user_sgpr_kernarg_segment_ptr 1
		.amdhsa_user_sgpr_dispatch_id 0
		.amdhsa_user_sgpr_flat_scratch_init 0
		.amdhsa_user_sgpr_private_segment_size 0
		.amdhsa_uses_dynamic_stack 0
		.amdhsa_system_sgpr_private_segment_wavefront_offset 0
		.amdhsa_system_sgpr_workgroup_id_x 1
		.amdhsa_system_sgpr_workgroup_id_y 0
		.amdhsa_system_sgpr_workgroup_id_z 0
		.amdhsa_system_sgpr_workgroup_info 0
		.amdhsa_system_vgpr_workitem_id 1
		.amdhsa_next_free_vgpr 31
		.amdhsa_next_free_sgpr 61
		.amdhsa_reserve_vcc 1
		.amdhsa_reserve_flat_scratch 0
		.amdhsa_float_round_mode_32 0
		.amdhsa_float_round_mode_16_64 0
		.amdhsa_float_denorm_mode_32 3
		.amdhsa_float_denorm_mode_16_64 3
		.amdhsa_dx10_clamp 1
		.amdhsa_ieee_mode 1
		.amdhsa_fp16_overflow 0
		.amdhsa_exception_fp_ieee_invalid_op 0
		.amdhsa_exception_fp_denorm_src 0
		.amdhsa_exception_fp_ieee_div_zero 0
		.amdhsa_exception_fp_ieee_overflow 0
		.amdhsa_exception_fp_ieee_underflow 0
		.amdhsa_exception_fp_ieee_inexact 0
		.amdhsa_exception_int_div_zero 0
	.end_amdhsa_kernel
	.section	.text._ZN9rocsparseL14nnz_kernel_rowILi64ELi16EiiDF16_EEv16rocsparse_order_T2_S2_PKT3_lPT1_,"axG",@progbits,_ZN9rocsparseL14nnz_kernel_rowILi64ELi16EiiDF16_EEv16rocsparse_order_T2_S2_PKT3_lPT1_,comdat
.Lfunc_end0:
	.size	_ZN9rocsparseL14nnz_kernel_rowILi64ELi16EiiDF16_EEv16rocsparse_order_T2_S2_PKT3_lPT1_, .Lfunc_end0-_ZN9rocsparseL14nnz_kernel_rowILi64ELi16EiiDF16_EEv16rocsparse_order_T2_S2_PKT3_lPT1_
                                        ; -- End function
	.set _ZN9rocsparseL14nnz_kernel_rowILi64ELi16EiiDF16_EEv16rocsparse_order_T2_S2_PKT3_lPT1_.num_vgpr, 31
	.set _ZN9rocsparseL14nnz_kernel_rowILi64ELi16EiiDF16_EEv16rocsparse_order_T2_S2_PKT3_lPT1_.num_agpr, 0
	.set _ZN9rocsparseL14nnz_kernel_rowILi64ELi16EiiDF16_EEv16rocsparse_order_T2_S2_PKT3_lPT1_.numbered_sgpr, 34
	.set _ZN9rocsparseL14nnz_kernel_rowILi64ELi16EiiDF16_EEv16rocsparse_order_T2_S2_PKT3_lPT1_.num_named_barrier, 0
	.set _ZN9rocsparseL14nnz_kernel_rowILi64ELi16EiiDF16_EEv16rocsparse_order_T2_S2_PKT3_lPT1_.private_seg_size, 0
	.set _ZN9rocsparseL14nnz_kernel_rowILi64ELi16EiiDF16_EEv16rocsparse_order_T2_S2_PKT3_lPT1_.uses_vcc, 1
	.set _ZN9rocsparseL14nnz_kernel_rowILi64ELi16EiiDF16_EEv16rocsparse_order_T2_S2_PKT3_lPT1_.uses_flat_scratch, 0
	.set _ZN9rocsparseL14nnz_kernel_rowILi64ELi16EiiDF16_EEv16rocsparse_order_T2_S2_PKT3_lPT1_.has_dyn_sized_stack, 0
	.set _ZN9rocsparseL14nnz_kernel_rowILi64ELi16EiiDF16_EEv16rocsparse_order_T2_S2_PKT3_lPT1_.has_recursion, 0
	.set _ZN9rocsparseL14nnz_kernel_rowILi64ELi16EiiDF16_EEv16rocsparse_order_T2_S2_PKT3_lPT1_.has_indirect_call, 0
	.section	.AMDGPU.csdata,"",@progbits
; Kernel info:
; codeLenInByte = 5208
; TotalNumSgprs: 38
; NumVgprs: 31
; ScratchSize: 0
; MemoryBound: 0
; FloatMode: 240
; IeeeMode: 1
; LDSByteSize: 16384 bytes/workgroup (compile time only)
; SGPRBlocks: 8
; VGPRBlocks: 7
; NumSGPRsForWavesPerEU: 65
; NumVGPRsForWavesPerEU: 31
; Occupancy: 8
; WaveLimiterHint : 0
; COMPUTE_PGM_RSRC2:SCRATCH_EN: 0
; COMPUTE_PGM_RSRC2:USER_SGPR: 6
; COMPUTE_PGM_RSRC2:TRAP_HANDLER: 0
; COMPUTE_PGM_RSRC2:TGID_X_EN: 1
; COMPUTE_PGM_RSRC2:TGID_Y_EN: 0
; COMPUTE_PGM_RSRC2:TGID_Z_EN: 0
; COMPUTE_PGM_RSRC2:TIDIG_COMP_CNT: 1
	.section	.text._ZN9rocsparseL14nnz_kernel_colILi256EiiDF16_EEv16rocsparse_order_T1_S2_PKT2_lPT0_,"axG",@progbits,_ZN9rocsparseL14nnz_kernel_colILi256EiiDF16_EEv16rocsparse_order_T1_S2_PKT2_lPT0_,comdat
	.globl	_ZN9rocsparseL14nnz_kernel_colILi256EiiDF16_EEv16rocsparse_order_T1_S2_PKT2_lPT0_ ; -- Begin function _ZN9rocsparseL14nnz_kernel_colILi256EiiDF16_EEv16rocsparse_order_T1_S2_PKT2_lPT0_
	.p2align	8
	.type	_ZN9rocsparseL14nnz_kernel_colILi256EiiDF16_EEv16rocsparse_order_T1_S2_PKT2_lPT0_,@function
_ZN9rocsparseL14nnz_kernel_colILi256EiiDF16_EEv16rocsparse_order_T1_S2_PKT2_lPT0_: ; @_ZN9rocsparseL14nnz_kernel_colILi256EiiDF16_EEv16rocsparse_order_T1_S2_PKT2_lPT0_
; %bb.0:
	s_load_dwordx2 s[8:9], s[4:5], 0x0
	s_load_dwordx4 s[0:3], s[4:5], 0x10
	s_waitcnt lgkmcnt(0)
	s_ashr_i32 s7, s9, 31
	s_lshr_b32 s7, s7, 24
	s_add_i32 s7, s9, s7
	s_and_b32 s10, s7, 0xffffff00
	s_cmp_eq_u32 s8, 1
	s_cbranch_scc1 .LBB1_6
; %bb.1:
	s_cmpk_lt_i32 s9, 0x100
	v_mov_b32_e32 v5, 0
	s_cbranch_scc1 .LBB1_7
; %bb.2:
	v_mad_u64_u32 v[1:2], s[12:13], s2, v0, 0
	s_ashr_i32 s7, s6, 31
	v_mov_b32_e32 v5, 0
	v_mad_u64_u32 v[2:3], s[12:13], s3, v0, v[2:3]
	s_lshl_b64 s[12:13], s[6:7], 1
	s_add_u32 s7, s0, s12
	v_lshlrev_b64 v[1:2], 1, v[1:2]
	s_addc_u32 s8, s1, s13
	v_mov_b32_e32 v3, s8
	v_add_co_u32_e32 v1, vcc, s7, v1
	s_lshl_b64 s[12:13], s[2:3], 9
	v_addc_co_u32_e32 v2, vcc, v3, v2, vcc
	s_mov_b32 s7, 0
	v_mov_b32_e32 v3, s13
	s_branch .LBB1_4
.LBB1_3:                                ;   in Loop: Header=BB1_4 Depth=1
	s_or_b64 exec, exec, s[14:15]
	s_addk_i32 s7, 0x100
	v_add_co_u32_e32 v1, vcc, s12, v1
	s_cmp_ge_i32 s7, s10
	v_addc_co_u32_e32 v2, vcc, v2, v3, vcc
	s_cbranch_scc1 .LBB1_7
.LBB1_4:                                ; =>This Inner Loop Header: Depth=1
	v_add_u32_e32 v4, s7, v0
	v_cmp_gt_i32_e32 vcc, s9, v4
	s_and_saveexec_b64 s[14:15], vcc
	s_cbranch_execz .LBB1_3
; %bb.5:                                ;   in Loop: Header=BB1_4 Depth=1
	global_load_ushort v4, v[1:2], off
	s_waitcnt vmcnt(0)
	v_cmp_neq_f16_e32 vcc, 0, v4
	v_addc_co_u32_e32 v5, vcc, 0, v5, vcc
	s_branch .LBB1_3
.LBB1_6:
                                        ; implicit-def: $vgpr5
	s_load_dwordx2 s[4:5], s[4:5], 0x20
	s_cbranch_execnz .LBB1_10
	s_branch .LBB1_16
.LBB1_7:
	v_add_u32_e32 v1, s10, v0
	v_cmp_gt_i32_e32 vcc, s9, v1
	s_and_saveexec_b64 s[12:13], vcc
	s_cbranch_execz .LBB1_9
; %bb.8:
	v_ashrrev_i32_e32 v2, 31, v1
	v_mul_lo_u32 v3, s3, v1
	v_mul_lo_u32 v4, s2, v2
	v_mad_u64_u32 v[1:2], s[14:15], s2, v1, 0
	s_ashr_i32 s7, s6, 31
	s_lshl_b64 s[14:15], s[6:7], 1
	v_add3_u32 v2, v2, v4, v3
	v_lshlrev_b64 v[1:2], 1, v[1:2]
	v_mov_b32_e32 v3, s1
	v_add_co_u32_e32 v1, vcc, s0, v1
	v_addc_co_u32_e32 v2, vcc, v3, v2, vcc
	v_mov_b32_e32 v3, s15
	v_add_co_u32_e32 v1, vcc, s14, v1
	v_addc_co_u32_e32 v2, vcc, v2, v3, vcc
	global_load_ushort v1, v[1:2], off
	s_waitcnt vmcnt(0)
	v_cmp_neq_f16_e32 vcc, 0, v1
	v_addc_co_u32_e32 v5, vcc, 0, v5, vcc
.LBB1_9:
	s_or_b64 exec, exec, s[12:13]
	s_load_dwordx2 s[4:5], s[4:5], 0x20
	s_branch .LBB1_16
.LBB1_10:
	s_ashr_i32 s7, s6, 31
	s_mul_hi_u32 s8, s2, s6
	s_mul_i32 s7, s2, s7
	s_add_i32 s7, s8, s7
	s_mul_i32 s3, s3, s6
	s_add_i32 s3, s7, s3
	s_mul_i32 s2, s2, s6
	v_cmp_gt_i32_e32 vcc, s9, v0
	s_lshl_b64 s[2:3], s[2:3], 1
	v_cndmask_b32_e32 v1, 0, v0, vcc
	s_add_u32 s0, s0, s2
	s_addc_u32 s1, s1, s3
	v_lshlrev_b32_e32 v1, 1, v1
	v_mov_b32_e32 v2, s1
	v_add_co_u32_e32 v1, vcc, s0, v1
	v_mov_b32_e32 v5, 0
	s_cmpk_lt_i32 s9, 0x100
	v_addc_co_u32_e32 v2, vcc, 0, v2, vcc
	s_cbranch_scc1 .LBB1_13
; %bb.11:
	v_mov_b32_e32 v4, v2
	s_mov_b32 s0, 0
	v_mov_b32_e32 v5, 0
	v_mov_b32_e32 v3, v1
.LBB1_12:                               ; =>This Inner Loop Header: Depth=1
	global_load_ushort v6, v[3:4], off
	v_add_co_u32_e32 v3, vcc, 0x200, v3
	v_addc_co_u32_e32 v4, vcc, 0, v4, vcc
	s_addk_i32 s0, 0x100
	s_cmp_ge_i32 s0, s10
	s_waitcnt vmcnt(0)
	v_cmp_neq_f16_e32 vcc, 0, v6
	v_addc_co_u32_e32 v5, vcc, 0, v5, vcc
	s_cbranch_scc0 .LBB1_12
.LBB1_13:
	v_add_u32_e32 v3, s10, v0
	v_cmp_gt_i32_e32 vcc, s9, v3
	s_and_saveexec_b64 s[0:1], vcc
	s_cbranch_execz .LBB1_15
; %bb.14:
	s_ashr_i32 s11, s10, 31
	s_lshl_b64 s[2:3], s[10:11], 1
	v_mov_b32_e32 v3, s3
	v_add_co_u32_e32 v1, vcc, s2, v1
	v_addc_co_u32_e32 v2, vcc, v2, v3, vcc
	global_load_ushort v1, v[1:2], off
	s_waitcnt vmcnt(0)
	v_cmp_neq_f16_e32 vcc, 0, v1
	v_addc_co_u32_e32 v5, vcc, 0, v5, vcc
.LBB1_15:
	s_or_b64 exec, exec, s[0:1]
.LBB1_16:
	v_lshlrev_b32_e32 v1, 2, v0
	s_cmpk_lt_i32 s9, 0x100
	s_mov_b64 s[0:1], -1
	v_cmp_eq_u32_e32 vcc, 0, v0
	ds_write_b32 v1, v5
	s_waitcnt lgkmcnt(0)
	s_cbranch_scc1 .LBB1_20
; %bb.17:
	s_and_b64 vcc, exec, s[0:1]
	s_cbranch_vccnz .LBB1_30
.LBB1_18:
	v_cmp_eq_u32_e32 vcc, 0, v0
	s_and_saveexec_b64 s[0:1], vcc
	s_cbranch_execnz .LBB1_47
.LBB1_19:
	s_endpgm
.LBB1_20:
	s_cmp_gt_i32 s9, 1
	s_cselect_b64 s[0:1], -1, 0
	s_mov_b32 s3, 1
	s_and_b64 s[10:11], vcc, s[0:1]
	s_barrier
	s_and_saveexec_b64 s[0:1], s[10:11]
	s_cbranch_execz .LBB1_29
; %bb.21:
	v_mov_b32_e32 v2, 0
	ds_read_b32 v2, v2
	s_add_i32 s2, s9, -1
	s_add_i32 s7, s9, -2
	s_cmp_lt_u32 s7, 7
	s_cbranch_scc1 .LBB1_25
; %bb.22:
	s_and_b32 s3, s2, -8
	s_mov_b32 s8, 0
	s_mov_b32 s7, 4
.LBB1_23:                               ; =>This Inner Loop Header: Depth=1
	v_mov_b32_e32 v9, s7
	ds_read2_b32 v[3:4], v9 offset1:1
	ds_read2_b32 v[5:6], v9 offset0:2 offset1:3
	ds_read2_b32 v[7:8], v9 offset0:4 offset1:5
	;; [unrolled: 1-line block ×3, first 2 shown]
	s_mov_b32 s9, s8
	s_waitcnt lgkmcnt(3)
	v_add_u32_e32 v2, v2, v3
	v_add_u32_e32 v2, v2, v4
	s_waitcnt lgkmcnt(2)
	v_add_u32_e32 v2, v2, v5
	v_add_u32_e32 v2, v2, v6
	;; [unrolled: 3-line block ×3, first 2 shown]
	s_add_i32 s7, s7, 32
	s_add_i32 s8, s8, 8
	s_waitcnt lgkmcnt(0)
	v_add_u32_e32 v2, v2, v9
	s_cmp_lg_u32 s3, s8
	v_add_u32_e32 v2, v2, v10
	s_cbranch_scc1 .LBB1_23
; %bb.24:
	s_add_i32 s3, s9, 9
.LBB1_25:
	s_and_b32 s2, s2, 7
	s_cmp_eq_u32 s2, 0
	s_cbranch_scc1 .LBB1_28
; %bb.26:
	s_lshl_b32 s3, s3, 2
.LBB1_27:                               ; =>This Inner Loop Header: Depth=1
	v_mov_b32_e32 v3, s3
	ds_read_b32 v3, v3
	s_add_i32 s3, s3, 4
	s_add_i32 s2, s2, -1
	s_cmp_lg_u32 s2, 0
	s_waitcnt lgkmcnt(0)
	v_add_u32_e32 v2, v2, v3
	s_cbranch_scc1 .LBB1_27
.LBB1_28:
	v_mov_b32_e32 v3, 0
	s_waitcnt lgkmcnt(0)
	ds_write_b32 v3, v2
.LBB1_29:
	s_or_b64 exec, exec, s[0:1]
	s_waitcnt lgkmcnt(0)
	s_barrier
	s_branch .LBB1_18
.LBB1_30:
	s_movk_i32 s0, 0x80
	v_cmp_gt_u32_e32 vcc, s0, v0
	s_barrier
	s_and_saveexec_b64 s[0:1], vcc
	s_cbranch_execz .LBB1_32
; %bb.31:
	ds_read2st64_b32 v[2:3], v1 offset1:2
	s_waitcnt lgkmcnt(0)
	v_add_u32_e32 v2, v2, v3
	ds_write_b32 v1, v2
.LBB1_32:
	s_or_b64 exec, exec, s[0:1]
	v_cmp_gt_u32_e32 vcc, 64, v0
	s_waitcnt lgkmcnt(0)
	s_barrier
	s_and_saveexec_b64 s[0:1], vcc
	s_cbranch_execz .LBB1_34
; %bb.33:
	ds_read2st64_b32 v[2:3], v1 offset1:1
	s_waitcnt lgkmcnt(0)
	v_add_u32_e32 v2, v2, v3
	ds_write_b32 v1, v2
.LBB1_34:
	s_or_b64 exec, exec, s[0:1]
	v_cmp_gt_u32_e32 vcc, 32, v0
	s_waitcnt lgkmcnt(0)
	s_barrier
	s_and_saveexec_b64 s[0:1], vcc
	s_cbranch_execz .LBB1_36
; %bb.35:
	ds_read2_b32 v[2:3], v1 offset1:32
	s_waitcnt lgkmcnt(0)
	v_add_u32_e32 v2, v2, v3
	ds_write_b32 v1, v2
.LBB1_36:
	s_or_b64 exec, exec, s[0:1]
	v_cmp_gt_u32_e32 vcc, 16, v0
	s_waitcnt lgkmcnt(0)
	s_barrier
	s_and_saveexec_b64 s[0:1], vcc
	s_cbranch_execz .LBB1_38
; %bb.37:
	ds_read2_b32 v[2:3], v1 offset1:16
	s_waitcnt lgkmcnt(0)
	v_add_u32_e32 v2, v2, v3
	ds_write_b32 v1, v2
.LBB1_38:
	;; [unrolled: 12-line block ×5, first 2 shown]
	s_or_b64 exec, exec, s[0:1]
	v_cmp_eq_u32_e32 vcc, 0, v0
	s_waitcnt lgkmcnt(0)
	s_barrier
	s_and_saveexec_b64 s[0:1], vcc
	s_cbranch_execz .LBB1_46
; %bb.45:
	v_mov_b32_e32 v3, 0
	ds_read_b64 v[1:2], v3
	s_waitcnt lgkmcnt(0)
	v_add_u32_e32 v1, v1, v2
	ds_write_b32 v3, v1
.LBB1_46:
	s_or_b64 exec, exec, s[0:1]
	s_waitcnt lgkmcnt(0)
	s_barrier
	v_cmp_eq_u32_e32 vcc, 0, v0
	s_and_saveexec_b64 s[0:1], vcc
	s_cbranch_execz .LBB1_19
.LBB1_47:
	v_mov_b32_e32 v0, 0
	ds_read_b32 v1, v0
	s_ashr_i32 s7, s6, 31
	s_lshl_b64 s[0:1], s[6:7], 2
	s_add_u32 s0, s4, s0
	s_addc_u32 s1, s5, s1
	s_waitcnt lgkmcnt(0)
	global_store_dword v0, v1, s[0:1]
	s_endpgm
	.section	.rodata,"a",@progbits
	.p2align	6, 0x0
	.amdhsa_kernel _ZN9rocsparseL14nnz_kernel_colILi256EiiDF16_EEv16rocsparse_order_T1_S2_PKT2_lPT0_
		.amdhsa_group_segment_fixed_size 1024
		.amdhsa_private_segment_fixed_size 0
		.amdhsa_kernarg_size 40
		.amdhsa_user_sgpr_count 6
		.amdhsa_user_sgpr_private_segment_buffer 1
		.amdhsa_user_sgpr_dispatch_ptr 0
		.amdhsa_user_sgpr_queue_ptr 0
		.amdhsa_user_sgpr_kernarg_segment_ptr 1
		.amdhsa_user_sgpr_dispatch_id 0
		.amdhsa_user_sgpr_flat_scratch_init 0
		.amdhsa_user_sgpr_private_segment_size 0
		.amdhsa_uses_dynamic_stack 0
		.amdhsa_system_sgpr_private_segment_wavefront_offset 0
		.amdhsa_system_sgpr_workgroup_id_x 1
		.amdhsa_system_sgpr_workgroup_id_y 0
		.amdhsa_system_sgpr_workgroup_id_z 0
		.amdhsa_system_sgpr_workgroup_info 0
		.amdhsa_system_vgpr_workitem_id 0
		.amdhsa_next_free_vgpr 11
		.amdhsa_next_free_sgpr 16
		.amdhsa_reserve_vcc 1
		.amdhsa_reserve_flat_scratch 0
		.amdhsa_float_round_mode_32 0
		.amdhsa_float_round_mode_16_64 0
		.amdhsa_float_denorm_mode_32 3
		.amdhsa_float_denorm_mode_16_64 3
		.amdhsa_dx10_clamp 1
		.amdhsa_ieee_mode 1
		.amdhsa_fp16_overflow 0
		.amdhsa_exception_fp_ieee_invalid_op 0
		.amdhsa_exception_fp_denorm_src 0
		.amdhsa_exception_fp_ieee_div_zero 0
		.amdhsa_exception_fp_ieee_overflow 0
		.amdhsa_exception_fp_ieee_underflow 0
		.amdhsa_exception_fp_ieee_inexact 0
		.amdhsa_exception_int_div_zero 0
	.end_amdhsa_kernel
	.section	.text._ZN9rocsparseL14nnz_kernel_colILi256EiiDF16_EEv16rocsparse_order_T1_S2_PKT2_lPT0_,"axG",@progbits,_ZN9rocsparseL14nnz_kernel_colILi256EiiDF16_EEv16rocsparse_order_T1_S2_PKT2_lPT0_,comdat
.Lfunc_end1:
	.size	_ZN9rocsparseL14nnz_kernel_colILi256EiiDF16_EEv16rocsparse_order_T1_S2_PKT2_lPT0_, .Lfunc_end1-_ZN9rocsparseL14nnz_kernel_colILi256EiiDF16_EEv16rocsparse_order_T1_S2_PKT2_lPT0_
                                        ; -- End function
	.set _ZN9rocsparseL14nnz_kernel_colILi256EiiDF16_EEv16rocsparse_order_T1_S2_PKT2_lPT0_.num_vgpr, 11
	.set _ZN9rocsparseL14nnz_kernel_colILi256EiiDF16_EEv16rocsparse_order_T1_S2_PKT2_lPT0_.num_agpr, 0
	.set _ZN9rocsparseL14nnz_kernel_colILi256EiiDF16_EEv16rocsparse_order_T1_S2_PKT2_lPT0_.numbered_sgpr, 16
	.set _ZN9rocsparseL14nnz_kernel_colILi256EiiDF16_EEv16rocsparse_order_T1_S2_PKT2_lPT0_.num_named_barrier, 0
	.set _ZN9rocsparseL14nnz_kernel_colILi256EiiDF16_EEv16rocsparse_order_T1_S2_PKT2_lPT0_.private_seg_size, 0
	.set _ZN9rocsparseL14nnz_kernel_colILi256EiiDF16_EEv16rocsparse_order_T1_S2_PKT2_lPT0_.uses_vcc, 1
	.set _ZN9rocsparseL14nnz_kernel_colILi256EiiDF16_EEv16rocsparse_order_T1_S2_PKT2_lPT0_.uses_flat_scratch, 0
	.set _ZN9rocsparseL14nnz_kernel_colILi256EiiDF16_EEv16rocsparse_order_T1_S2_PKT2_lPT0_.has_dyn_sized_stack, 0
	.set _ZN9rocsparseL14nnz_kernel_colILi256EiiDF16_EEv16rocsparse_order_T1_S2_PKT2_lPT0_.has_recursion, 0
	.set _ZN9rocsparseL14nnz_kernel_colILi256EiiDF16_EEv16rocsparse_order_T1_S2_PKT2_lPT0_.has_indirect_call, 0
	.section	.AMDGPU.csdata,"",@progbits
; Kernel info:
; codeLenInByte = 1304
; TotalNumSgprs: 20
; NumVgprs: 11
; ScratchSize: 0
; MemoryBound: 0
; FloatMode: 240
; IeeeMode: 1
; LDSByteSize: 1024 bytes/workgroup (compile time only)
; SGPRBlocks: 2
; VGPRBlocks: 2
; NumSGPRsForWavesPerEU: 20
; NumVGPRsForWavesPerEU: 11
; Occupancy: 10
; WaveLimiterHint : 0
; COMPUTE_PGM_RSRC2:SCRATCH_EN: 0
; COMPUTE_PGM_RSRC2:USER_SGPR: 6
; COMPUTE_PGM_RSRC2:TRAP_HANDLER: 0
; COMPUTE_PGM_RSRC2:TGID_X_EN: 1
; COMPUTE_PGM_RSRC2:TGID_Y_EN: 0
; COMPUTE_PGM_RSRC2:TGID_Z_EN: 0
; COMPUTE_PGM_RSRC2:TIDIG_COMP_CNT: 0
	.section	.text._ZN9rocsparseL14nnz_kernel_rowILi64ELi16Eii18rocsparse_bfloat16EEv16rocsparse_order_T2_S3_PKT3_lPT1_,"axG",@progbits,_ZN9rocsparseL14nnz_kernel_rowILi64ELi16Eii18rocsparse_bfloat16EEv16rocsparse_order_T2_S3_PKT3_lPT1_,comdat
	.globl	_ZN9rocsparseL14nnz_kernel_rowILi64ELi16Eii18rocsparse_bfloat16EEv16rocsparse_order_T2_S3_PKT3_lPT1_ ; -- Begin function _ZN9rocsparseL14nnz_kernel_rowILi64ELi16Eii18rocsparse_bfloat16EEv16rocsparse_order_T2_S3_PKT3_lPT1_
	.p2align	8
	.type	_ZN9rocsparseL14nnz_kernel_rowILi64ELi16Eii18rocsparse_bfloat16EEv16rocsparse_order_T2_S3_PKT3_lPT1_,@function
_ZN9rocsparseL14nnz_kernel_rowILi64ELi16Eii18rocsparse_bfloat16EEv16rocsparse_order_T2_S3_PKT3_lPT1_: ; @_ZN9rocsparseL14nnz_kernel_rowILi64ELi16Eii18rocsparse_bfloat16EEv16rocsparse_order_T2_S3_PKT3_lPT1_
; %bb.0:
	s_load_dword s0, s[4:5], 0x34
	s_load_dwordx2 s[10:11], s[4:5], 0x20
	s_load_dwordx8 s[12:19], s[4:5], 0x0
	s_waitcnt lgkmcnt(0)
	s_lshl_b32 s15, s6, 8
	s_and_b32 s0, s0, 0xffff
	v_mad_u32_u24 v14, v1, s0, v0
	s_ashr_i32 s0, s14, 31
	s_lshr_b32 s0, s0, 26
	v_and_b32_e32 v15, 63, v14
	s_add_i32 s33, s14, s0
	v_lshrrev_b32_e32 v0, 4, v14
	v_or_b32_e32 v10, s15, v15
	s_andn2_b32 s33, s33, 63
	v_and_b32_e32 v8, 0x7ffffc, v0
	v_mov_b32_e32 v0, 0
	v_cmp_gt_i32_e32 vcc, s33, v8
	v_mov_b32_e32 v1, v0
	v_mov_b32_e32 v2, v0
	v_mov_b32_e32 v3, v0
	v_or_b32_e32 v16, 64, v10
	s_and_saveexec_b64 s[20:21], vcc
	s_cbranch_execz .LBB2_28
; %bb.1:
	v_lshrrev_b32_e32 v13, 6, v14
	v_add_u32_e32 v1, s15, v15
	v_lshlrev_b32_e32 v21, 2, v13
	v_ashrrev_i32_e32 v2, 31, v1
	v_or_b32_e32 v11, 3, v21
	v_mul_lo_u32 v7, s18, v2
	v_mul_lo_u32 v9, s19, v1
	v_mad_u64_u32 v[3:4], s[0:1], s18, v1, 0
	v_mad_u64_u32 v[5:6], s[0:1], s18, v11, 0
	v_add3_u32 v4, v4, v7, v9
	v_mad_u64_u32 v[27:28], s[0:1], s18, v13, 0
	v_mad_u64_u32 v[6:7], s[0:1], s19, v11, v[6:7]
	v_or_b32_e32 v11, 2, v21
	v_mad_u64_u32 v[19:20], s[0:1], s18, v11, 0
	v_add_u32_e32 v7, 64, v1
	v_ashrrev_i32_e32 v9, 31, v7
	v_mul_lo_u32 v22, s19, v7
	v_mad_u64_u32 v[17:18], s[0:1], s18, v7, 0
	v_mov_b32_e32 v7, v20
	v_mad_u64_u32 v[11:12], s[0:1], s19, v11, v[7:8]
	v_mul_lo_u32 v9, s18, v9
	v_lshlrev_b64 v[3:4], 1, v[3:4]
	v_mov_b32_e32 v20, v11
	v_mov_b32_e32 v11, s18
	;; [unrolled: 1-line block ×3, first 2 shown]
	v_mad_u64_u32 v[23:24], s[0:1], s18, v21, v[11:12]
	v_add3_u32 v18, v18, v9, v22
	v_add_u32_e32 v9, 0x80, v1
	v_ashrrev_i32_e32 v7, 31, v9
	v_mul_lo_u32 v25, s18, v7
	v_mov_b32_e32 v7, v24
	v_mul_lo_u32 v26, s19, v9
	v_mad_u64_u32 v[11:12], s[0:1], s19, v21, v[7:8]
	v_mad_u64_u32 v[21:22], s[0:1], s18, v9, 0
	v_add_u32_e32 v7, 0xc0, v1
	v_ashrrev_i32_e32 v9, 31, v7
	v_add3_u32 v22, v22, v25, v26
	v_mov_b32_e32 v24, v11
	v_mul_lo_u32 v9, s18, v9
	v_mul_lo_u32 v11, s19, v7
	v_mad_u64_u32 v[25:26], s[0:1], s18, v7, 0
	v_mov_b32_e32 v7, v28
	v_lshlrev_b64 v[1:2], 1, v[1:2]
	v_add3_u32 v26, v26, v9, v11
	v_mad_u64_u32 v[11:12], s[0:1], s19, v13, v[7:8]
	v_or_b32_e32 v7, 0x80, v10
	v_cmp_gt_i32_e64 s[0:1], s13, v7
	v_or_b32_e32 v7, 0xc0, v10
	v_cmp_gt_i32_e64 s[2:3], s13, v7
	v_lshlrev_b32_e32 v7, 3, v13
	v_add_co_u32_e32 v9, vcc, v3, v7
	v_mov_b32_e32 v28, v11
	v_addc_co_u32_e32 v11, vcc, 0, v4, vcc
	v_lshlrev_b64 v[3:4], 1, v[5:6]
	s_cmp_lg_u32 s12, 1
	v_add_co_u32_e32 v12, vcc, v3, v1
	v_addc_co_u32_e32 v13, vcc, v4, v2, vcc
	v_lshlrev_b64 v[3:4], 1, v[17:18]
	s_cselect_b64 s[22:23], -1, 0
	v_add_co_u32_e32 v17, vcc, v3, v7
	v_addc_co_u32_e32 v18, vcc, 0, v4, vcc
	v_lshlrev_b64 v[3:4], 1, v[19:20]
	v_cmp_gt_i32_e64 s[4:5], s13, v10
	v_add_co_u32_e32 v19, vcc, v3, v1
	v_addc_co_u32_e32 v20, vcc, v4, v2, vcc
	v_lshlrev_b64 v[3:4], 1, v[21:22]
	v_cmp_gt_i32_e64 s[6:7], s13, v16
	v_add_co_u32_e32 v21, vcc, v3, v7
	v_addc_co_u32_e32 v22, vcc, 0, v4, vcc
	v_lshlrev_b64 v[3:4], 1, v[23:24]
	s_lshl_b64 s[24:25], s[18:19], 7
	v_add_co_u32_e32 v23, vcc, v3, v1
	v_addc_co_u32_e32 v24, vcc, v4, v2, vcc
	v_lshlrev_b64 v[3:4], 1, v[25:26]
	s_mov_b64 s[26:27], 0
	v_add_co_u32_e32 v25, vcc, v3, v7
	v_addc_co_u32_e32 v26, vcc, 0, v4, vcc
	v_lshlrev_b64 v[3:4], 3, v[27:28]
	s_movk_i32 s34, 0x7fff
	v_add_co_u32_e32 v27, vcc, v3, v1
	v_addc_co_u32_e32 v28, vcc, v4, v2, vcc
	v_mov_b32_e32 v1, v0
	v_mov_b32_e32 v2, v0
	;; [unrolled: 1-line block ×3, first 2 shown]
	s_branch .LBB2_4
.LBB2_2:                                ;   in Loop: Header=BB2_4 Depth=1
	v_mov_b32_e32 v0, v4
	v_mov_b32_e32 v1, v5
	v_mov_b32_e32 v2, v6
	v_mov_b32_e32 v3, v7
.LBB2_3:                                ;   in Loop: Header=BB2_4 Depth=1
	s_or_b64 exec, exec, s[28:29]
	v_add_co_u32_e32 v9, vcc, 0x80, v9
	v_addc_co_u32_e32 v11, vcc, 0, v11, vcc
	v_mov_b32_e32 v4, s25
	v_add_co_u32_e32 v12, vcc, s24, v12
	v_addc_co_u32_e32 v13, vcc, v13, v4, vcc
	v_add_co_u32_e32 v17, vcc, 0x80, v17
	v_addc_co_u32_e32 v18, vcc, 0, v18, vcc
	;; [unrolled: 2-line block ×5, first 2 shown]
	v_add_co_u32_e32 v25, vcc, 0x80, v25
	v_add_u32_e32 v8, 64, v8
	v_addc_co_u32_e32 v26, vcc, 0, v26, vcc
	v_cmp_le_i32_e32 vcc, s33, v8
	s_or_b64 s[26:27], vcc, s[26:27]
	v_add_co_u32_e32 v27, vcc, s24, v27
	v_addc_co_u32_e32 v28, vcc, v28, v4, vcc
	s_andn2_b64 exec, exec, s[26:27]
	s_cbranch_execz .LBB2_27
.LBB2_4:                                ; =>This Inner Loop Header: Depth=1
	v_cndmask_b32_e64 v4, 0, 1, s[22:23]
	v_cmp_ne_u32_e64 s[8:9], 1, v4
	s_and_saveexec_b64 s[28:29], s[4:5]
	s_cbranch_execnz .LBB2_8
; %bb.5:                                ;   in Loop: Header=BB2_4 Depth=1
	s_or_b64 exec, exec, s[28:29]
	s_and_saveexec_b64 s[28:29], s[6:7]
	s_cbranch_execnz .LBB2_13
.LBB2_6:                                ;   in Loop: Header=BB2_4 Depth=1
	s_or_b64 exec, exec, s[28:29]
	s_and_saveexec_b64 s[28:29], s[0:1]
	s_cbranch_execnz .LBB2_18
.LBB2_7:                                ;   in Loop: Header=BB2_4 Depth=1
	s_or_b64 exec, exec, s[28:29]
	s_and_saveexec_b64 s[28:29], s[2:3]
	s_cbranch_execz .LBB2_3
	s_branch .LBB2_23
.LBB2_8:                                ;   in Loop: Header=BB2_4 Depth=1
	s_mov_b64 s[30:31], -1
	s_and_b64 vcc, exec, s[8:9]
	v_add_u32_e32 v29, 1, v0
                                        ; implicit-def: $vgpr4_vgpr5_vgpr6_vgpr7
	s_cbranch_vccnz .LBB2_10
; %bb.9:                                ;   in Loop: Header=BB2_4 Depth=1
	v_add_co_u32_e32 v4, vcc, s16, v9
	v_mov_b32_e32 v5, s17
	v_addc_co_u32_e32 v5, vcc, v5, v11, vcc
	global_load_dwordx2 v[4:5], v[4:5], off
	v_mov_b32_e32 v7, v3
	s_mov_b64 s[30:31], 0
	s_waitcnt vmcnt(0)
	v_and_b32_e32 v6, 0x7fff, v4
	v_cmp_eq_u16_e32 vcc, 0, v6
	v_cndmask_b32_e32 v6, v29, v0, vcc
	v_and_b32_sdwa v4, v4, s34 dst_sel:DWORD dst_unused:UNUSED_PAD src0_sel:WORD_1 src1_sel:DWORD
	v_cmp_eq_u16_e32 vcc, 0, v4
	v_add_u32_e32 v4, 1, v6
	v_cndmask_b32_e32 v4, v4, v6, vcc
	v_and_b32_e32 v6, 0x7fff, v5
	v_cmp_eq_u16_e32 vcc, 0, v6
	v_add_u32_e32 v6, 1, v4
	v_cndmask_b32_e32 v4, v6, v4, vcc
	v_and_b32_sdwa v5, v5, s34 dst_sel:DWORD dst_unused:UNUSED_PAD src0_sel:WORD_1 src1_sel:DWORD
	v_cmp_eq_u16_e32 vcc, 0, v5
	v_add_u32_e32 v5, 1, v4
	v_cndmask_b32_e32 v4, v5, v4, vcc
	v_mov_b32_e32 v5, v1
	v_mov_b32_e32 v6, v2
.LBB2_10:                               ;   in Loop: Header=BB2_4 Depth=1
	s_andn2_b64 vcc, exec, s[30:31]
	s_cbranch_vccnz .LBB2_12
; %bb.11:                               ;   in Loop: Header=BB2_4 Depth=1
	v_add_co_u32_e32 v4, vcc, s16, v27
	v_mov_b32_e32 v5, s17
	v_addc_co_u32_e32 v5, vcc, v5, v28, vcc
	global_load_ushort v4, v[4:5], off
	v_mov_b32_e32 v5, s17
	s_waitcnt vmcnt(0)
	v_and_b32_e32 v4, 0x7fff, v4
	v_cmp_eq_u16_e32 vcc, 0, v4
	v_cndmask_b32_e32 v0, v29, v0, vcc
	v_add_co_u32_e32 v4, vcc, s16, v23
	v_addc_co_u32_e32 v5, vcc, v5, v24, vcc
	global_load_ushort v4, v[4:5], off
	v_mov_b32_e32 v5, s17
	s_waitcnt vmcnt(0)
	v_and_b32_e32 v4, 0x7fff, v4
	v_cmp_eq_u16_e32 vcc, 0, v4
	v_add_u32_e32 v4, 1, v0
	v_cndmask_b32_e32 v0, v4, v0, vcc
	v_add_co_u32_e32 v4, vcc, s16, v19
	v_addc_co_u32_e32 v5, vcc, v5, v20, vcc
	global_load_ushort v4, v[4:5], off
	v_mov_b32_e32 v5, s17
	s_waitcnt vmcnt(0)
	v_and_b32_e32 v4, 0x7fff, v4
	v_cmp_eq_u16_e32 vcc, 0, v4
	v_add_u32_e32 v4, 1, v0
	v_cndmask_b32_e32 v0, v4, v0, vcc
	v_add_co_u32_e32 v4, vcc, s16, v12
	v_addc_co_u32_e32 v5, vcc, v5, v13, vcc
	global_load_ushort v4, v[4:5], off
	s_waitcnt vmcnt(0)
	v_and_b32_e32 v4, 0x7fff, v4
	v_cmp_eq_u16_e32 vcc, 0, v4
	v_add_u32_e32 v4, 1, v0
	v_cndmask_b32_e32 v0, v4, v0, vcc
	v_mov_b32_e32 v7, v3
	v_mov_b32_e32 v6, v2
	;; [unrolled: 1-line block ×4, first 2 shown]
.LBB2_12:                               ;   in Loop: Header=BB2_4 Depth=1
	v_mov_b32_e32 v0, v4
	v_mov_b32_e32 v1, v5
	v_mov_b32_e32 v2, v6
	v_mov_b32_e32 v3, v7
	s_or_b64 exec, exec, s[28:29]
	s_and_saveexec_b64 s[28:29], s[6:7]
	s_cbranch_execz .LBB2_6
.LBB2_13:                               ;   in Loop: Header=BB2_4 Depth=1
	s_mov_b64 s[30:31], -1
	s_and_b64 vcc, exec, s[8:9]
	v_add_u32_e32 v29, 1, v1
                                        ; implicit-def: $vgpr4_vgpr5_vgpr6_vgpr7
	s_cbranch_vccnz .LBB2_15
; %bb.14:                               ;   in Loop: Header=BB2_4 Depth=1
	v_add_co_u32_e32 v4, vcc, s16, v17
	v_mov_b32_e32 v5, s17
	v_addc_co_u32_e32 v5, vcc, v5, v18, vcc
	global_load_dwordx2 v[4:5], v[4:5], off
	v_mov_b32_e32 v7, v3
	s_mov_b64 s[30:31], 0
	s_waitcnt vmcnt(0)
	v_and_b32_e32 v6, 0x7fff, v4
	v_cmp_eq_u16_e32 vcc, 0, v6
	v_cndmask_b32_e32 v6, v29, v1, vcc
	v_and_b32_sdwa v4, v4, s34 dst_sel:DWORD dst_unused:UNUSED_PAD src0_sel:WORD_1 src1_sel:DWORD
	v_cmp_eq_u16_e32 vcc, 0, v4
	v_add_u32_e32 v4, 1, v6
	v_cndmask_b32_e32 v4, v4, v6, vcc
	v_and_b32_e32 v6, 0x7fff, v5
	v_cmp_eq_u16_e32 vcc, 0, v6
	v_add_u32_e32 v6, 1, v4
	v_cndmask_b32_e32 v4, v6, v4, vcc
	v_and_b32_sdwa v5, v5, s34 dst_sel:DWORD dst_unused:UNUSED_PAD src0_sel:WORD_1 src1_sel:DWORD
	v_cmp_eq_u16_e32 vcc, 0, v5
	v_add_u32_e32 v5, 1, v4
	v_cndmask_b32_e32 v5, v5, v4, vcc
	v_mov_b32_e32 v4, v0
	v_mov_b32_e32 v6, v2
.LBB2_15:                               ;   in Loop: Header=BB2_4 Depth=1
	s_andn2_b64 vcc, exec, s[30:31]
	s_cbranch_vccnz .LBB2_17
; %bb.16:                               ;   in Loop: Header=BB2_4 Depth=1
	v_add_co_u32_e32 v4, vcc, s16, v27
	v_mov_b32_e32 v5, s17
	v_addc_co_u32_e32 v5, vcc, v5, v28, vcc
	global_load_ushort v4, v[4:5], off offset:128
	v_mov_b32_e32 v5, s17
	s_waitcnt vmcnt(0)
	v_and_b32_e32 v4, 0x7fff, v4
	v_cmp_eq_u16_e32 vcc, 0, v4
	v_cndmask_b32_e32 v1, v29, v1, vcc
	v_add_co_u32_e32 v4, vcc, s16, v23
	v_addc_co_u32_e32 v5, vcc, v5, v24, vcc
	global_load_ushort v4, v[4:5], off offset:128
	v_mov_b32_e32 v5, s17
	s_waitcnt vmcnt(0)
	v_and_b32_e32 v4, 0x7fff, v4
	v_cmp_eq_u16_e32 vcc, 0, v4
	v_add_u32_e32 v4, 1, v1
	v_cndmask_b32_e32 v1, v4, v1, vcc
	v_add_co_u32_e32 v4, vcc, s16, v19
	v_addc_co_u32_e32 v5, vcc, v5, v20, vcc
	global_load_ushort v4, v[4:5], off offset:128
	v_mov_b32_e32 v5, s17
	s_waitcnt vmcnt(0)
	v_and_b32_e32 v4, 0x7fff, v4
	v_cmp_eq_u16_e32 vcc, 0, v4
	v_add_u32_e32 v4, 1, v1
	v_cndmask_b32_e32 v1, v4, v1, vcc
	v_add_co_u32_e32 v4, vcc, s16, v12
	v_addc_co_u32_e32 v5, vcc, v5, v13, vcc
	global_load_ushort v4, v[4:5], off offset:128
	s_waitcnt vmcnt(0)
	v_and_b32_e32 v4, 0x7fff, v4
	v_cmp_eq_u16_e32 vcc, 0, v4
	v_add_u32_e32 v4, 1, v1
	v_cndmask_b32_e32 v1, v4, v1, vcc
	v_mov_b32_e32 v7, v3
	v_mov_b32_e32 v6, v2
	;; [unrolled: 1-line block ×4, first 2 shown]
.LBB2_17:                               ;   in Loop: Header=BB2_4 Depth=1
	v_mov_b32_e32 v0, v4
	v_mov_b32_e32 v1, v5
	;; [unrolled: 1-line block ×4, first 2 shown]
	s_or_b64 exec, exec, s[28:29]
	s_and_saveexec_b64 s[28:29], s[0:1]
	s_cbranch_execz .LBB2_7
.LBB2_18:                               ;   in Loop: Header=BB2_4 Depth=1
	s_mov_b64 s[30:31], -1
	s_and_b64 vcc, exec, s[8:9]
	v_add_u32_e32 v29, 1, v2
                                        ; implicit-def: $vgpr4_vgpr5_vgpr6_vgpr7
	s_cbranch_vccnz .LBB2_20
; %bb.19:                               ;   in Loop: Header=BB2_4 Depth=1
	v_add_co_u32_e32 v4, vcc, s16, v21
	v_mov_b32_e32 v5, s17
	v_addc_co_u32_e32 v5, vcc, v5, v22, vcc
	global_load_dwordx2 v[4:5], v[4:5], off
	v_mov_b32_e32 v7, v3
	s_mov_b64 s[30:31], 0
	s_waitcnt vmcnt(0)
	v_and_b32_e32 v6, 0x7fff, v4
	v_cmp_eq_u16_e32 vcc, 0, v6
	v_cndmask_b32_e32 v6, v29, v2, vcc
	v_and_b32_sdwa v4, v4, s34 dst_sel:DWORD dst_unused:UNUSED_PAD src0_sel:WORD_1 src1_sel:DWORD
	v_cmp_eq_u16_e32 vcc, 0, v4
	v_add_u32_e32 v4, 1, v6
	v_cndmask_b32_e32 v4, v4, v6, vcc
	v_and_b32_e32 v6, 0x7fff, v5
	v_cmp_eq_u16_e32 vcc, 0, v6
	v_add_u32_e32 v6, 1, v4
	v_cndmask_b32_e32 v4, v6, v4, vcc
	v_and_b32_sdwa v5, v5, s34 dst_sel:DWORD dst_unused:UNUSED_PAD src0_sel:WORD_1 src1_sel:DWORD
	v_cmp_eq_u16_e32 vcc, 0, v5
	v_add_u32_e32 v5, 1, v4
	v_cndmask_b32_e32 v6, v5, v4, vcc
	v_mov_b32_e32 v4, v0
	v_mov_b32_e32 v5, v1
.LBB2_20:                               ;   in Loop: Header=BB2_4 Depth=1
	s_andn2_b64 vcc, exec, s[30:31]
	s_cbranch_vccnz .LBB2_22
; %bb.21:                               ;   in Loop: Header=BB2_4 Depth=1
	v_add_co_u32_e32 v4, vcc, s16, v27
	v_mov_b32_e32 v5, s17
	v_addc_co_u32_e32 v5, vcc, v5, v28, vcc
	global_load_ushort v4, v[4:5], off offset:256
	v_mov_b32_e32 v5, s17
	s_waitcnt vmcnt(0)
	v_and_b32_e32 v4, 0x7fff, v4
	v_cmp_eq_u16_e32 vcc, 0, v4
	v_cndmask_b32_e32 v2, v29, v2, vcc
	v_add_co_u32_e32 v4, vcc, s16, v23
	v_addc_co_u32_e32 v5, vcc, v5, v24, vcc
	global_load_ushort v4, v[4:5], off offset:256
	v_mov_b32_e32 v5, s17
	s_waitcnt vmcnt(0)
	v_and_b32_e32 v4, 0x7fff, v4
	v_cmp_eq_u16_e32 vcc, 0, v4
	v_add_u32_e32 v4, 1, v2
	v_cndmask_b32_e32 v2, v4, v2, vcc
	v_add_co_u32_e32 v4, vcc, s16, v19
	v_addc_co_u32_e32 v5, vcc, v5, v20, vcc
	global_load_ushort v4, v[4:5], off offset:256
	v_mov_b32_e32 v5, s17
	s_waitcnt vmcnt(0)
	v_and_b32_e32 v4, 0x7fff, v4
	v_cmp_eq_u16_e32 vcc, 0, v4
	v_add_u32_e32 v4, 1, v2
	v_cndmask_b32_e32 v2, v4, v2, vcc
	v_add_co_u32_e32 v4, vcc, s16, v12
	v_addc_co_u32_e32 v5, vcc, v5, v13, vcc
	global_load_ushort v4, v[4:5], off offset:256
	s_waitcnt vmcnt(0)
	v_and_b32_e32 v4, 0x7fff, v4
	v_cmp_eq_u16_e32 vcc, 0, v4
	v_add_u32_e32 v4, 1, v2
	v_cndmask_b32_e32 v2, v4, v2, vcc
	v_mov_b32_e32 v7, v3
	v_mov_b32_e32 v6, v2
	;; [unrolled: 1-line block ×4, first 2 shown]
.LBB2_22:                               ;   in Loop: Header=BB2_4 Depth=1
	v_mov_b32_e32 v0, v4
	v_mov_b32_e32 v1, v5
	;; [unrolled: 1-line block ×4, first 2 shown]
	s_or_b64 exec, exec, s[28:29]
	s_and_saveexec_b64 s[28:29], s[2:3]
	s_cbranch_execz .LBB2_3
.LBB2_23:                               ;   in Loop: Header=BB2_4 Depth=1
	s_mov_b64 s[30:31], -1
	s_and_b64 vcc, exec, s[8:9]
	v_add_u32_e32 v29, 1, v3
                                        ; implicit-def: $vgpr4_vgpr5_vgpr6_vgpr7
	s_cbranch_vccnz .LBB2_25
; %bb.24:                               ;   in Loop: Header=BB2_4 Depth=1
	v_add_co_u32_e32 v4, vcc, s16, v25
	v_mov_b32_e32 v5, s17
	v_addc_co_u32_e32 v5, vcc, v5, v26, vcc
	global_load_dwordx2 v[4:5], v[4:5], off
	s_mov_b64 s[30:31], 0
	s_waitcnt vmcnt(0)
	v_and_b32_e32 v6, 0x7fff, v4
	v_cmp_eq_u16_e32 vcc, 0, v6
	v_cndmask_b32_e32 v6, v29, v3, vcc
	v_and_b32_sdwa v4, v4, s34 dst_sel:DWORD dst_unused:UNUSED_PAD src0_sel:WORD_1 src1_sel:DWORD
	v_cmp_eq_u16_e32 vcc, 0, v4
	v_add_u32_e32 v4, 1, v6
	v_cndmask_b32_e32 v4, v4, v6, vcc
	v_and_b32_e32 v6, 0x7fff, v5
	v_cmp_eq_u16_e32 vcc, 0, v6
	v_add_u32_e32 v6, 1, v4
	v_cndmask_b32_e32 v4, v6, v4, vcc
	v_and_b32_sdwa v5, v5, s34 dst_sel:DWORD dst_unused:UNUSED_PAD src0_sel:WORD_1 src1_sel:DWORD
	v_cmp_eq_u16_e32 vcc, 0, v5
	v_add_u32_e32 v5, 1, v4
	v_cndmask_b32_e32 v7, v5, v4, vcc
	v_mov_b32_e32 v4, v0
	v_mov_b32_e32 v5, v1
	;; [unrolled: 1-line block ×3, first 2 shown]
.LBB2_25:                               ;   in Loop: Header=BB2_4 Depth=1
	s_andn2_b64 vcc, exec, s[30:31]
	s_cbranch_vccnz .LBB2_2
; %bb.26:                               ;   in Loop: Header=BB2_4 Depth=1
	v_add_co_u32_e32 v4, vcc, s16, v27
	v_mov_b32_e32 v5, s17
	v_addc_co_u32_e32 v5, vcc, v5, v28, vcc
	global_load_ushort v4, v[4:5], off offset:384
	s_waitcnt vmcnt(0)
	v_and_b32_e32 v4, 0x7fff, v4
	v_cmp_eq_u16_e32 vcc, 0, v4
	v_cndmask_b32_e32 v5, v29, v3, vcc
	v_add_co_u32_e32 v3, vcc, s16, v23
	v_mov_b32_e32 v4, s17
	v_addc_co_u32_e32 v4, vcc, v4, v24, vcc
	global_load_ushort v3, v[3:4], off offset:384
	v_mov_b32_e32 v4, s17
	s_waitcnt vmcnt(0)
	v_and_b32_e32 v3, 0x7fff, v3
	v_cmp_eq_u16_e32 vcc, 0, v3
	v_add_u32_e32 v3, 1, v5
	v_cndmask_b32_e32 v5, v3, v5, vcc
	v_add_co_u32_e32 v3, vcc, s16, v19
	v_addc_co_u32_e32 v4, vcc, v4, v20, vcc
	global_load_ushort v3, v[3:4], off offset:384
	v_mov_b32_e32 v4, s17
	s_waitcnt vmcnt(0)
	v_and_b32_e32 v3, 0x7fff, v3
	v_cmp_eq_u16_e32 vcc, 0, v3
	v_add_u32_e32 v3, 1, v5
	v_cndmask_b32_e32 v5, v3, v5, vcc
	v_add_co_u32_e32 v3, vcc, s16, v12
	v_addc_co_u32_e32 v4, vcc, v4, v13, vcc
	global_load_ushort v3, v[3:4], off offset:384
	s_waitcnt vmcnt(0)
	v_and_b32_e32 v3, 0x7fff, v3
	v_cmp_eq_u16_e32 vcc, 0, v3
	v_add_u32_e32 v3, 1, v5
	v_cndmask_b32_e32 v3, v3, v5, vcc
	v_mov_b32_e32 v7, v3
	v_mov_b32_e32 v6, v2
	;; [unrolled: 1-line block ×4, first 2 shown]
	s_branch .LBB2_2
.LBB2_27:
	s_or_b64 exec, exec, s[26:27]
.LBB2_28:
	s_or_b64 exec, exec, s[20:21]
	s_sub_i32 s0, s14, s33
	s_cmp_lt_i32 s0, 1
	s_cbranch_scc1 .LBB2_134
; %bb.29:
	v_mov_b32_e32 v9, 0
	v_lshlrev_b64 v[4:5], 1, v[8:9]
	v_mov_b32_e32 v6, s17
	v_add_co_u32_e32 v9, vcc, s16, v4
	s_cmp_lg_u32 s12, 1
	v_addc_co_u32_e32 v17, vcc, v6, v5, vcc
	s_cselect_b64 s[0:1], -1, 0
	v_cmp_gt_i32_e32 vcc, s13, v10
	v_ashrrev_i32_e32 v11, 31, v10
	s_and_saveexec_b64 s[2:3], vcc
	s_cbranch_execz .LBB2_55
; %bb.30:
	v_mul_lo_u32 v6, s19, v10
	v_mul_lo_u32 v7, s18, v11
	v_mad_u64_u32 v[4:5], s[4:5], s18, v10, 0
	v_add3_u32 v5, v5, v7, v6
	v_lshlrev_b64 v[4:5], 1, v[4:5]
	v_mov_b32_e32 v6, s17
	v_add_co_u32_e32 v12, vcc, v9, v4
	v_addc_co_u32_e32 v13, vcc, v17, v5, vcc
	v_lshlrev_b64 v[4:5], 1, v[10:11]
	v_add_co_u32_e32 v18, vcc, s16, v4
	v_addc_co_u32_e32 v19, vcc, v6, v5, vcc
	v_cmp_gt_i32_e32 vcc, s14, v8
	s_and_saveexec_b64 s[4:5], vcc
	s_cbranch_execz .LBB2_36
; %bb.31:
	s_and_b64 vcc, exec, s[0:1]
	s_cbranch_vccz .LBB2_33
; %bb.32:
	global_load_ushort v20, v[12:13], off
	v_mov_b32_e32 v7, v3
	v_mov_b32_e32 v4, v0
	;; [unrolled: 1-line block ×4, first 2 shown]
	s_waitcnt vmcnt(0)
	v_and_b32_e32 v4, 0x7fff, v20
	v_cmp_ne_u16_e32 vcc, 0, v4
	v_addc_co_u32_e32 v4, vcc, 0, v0, vcc
	s_cbranch_execz .LBB2_34
	s_branch .LBB2_35
.LBB2_33:
                                        ; implicit-def: $vgpr4_vgpr5_vgpr6_vgpr7
.LBB2_34:
	v_mad_u64_u32 v[4:5], s[6:7], s18, v8, 0
	v_mad_u64_u32 v[5:6], s[6:7], s19, v8, v[5:6]
	v_lshlrev_b64 v[4:5], 1, v[4:5]
	v_add_co_u32_e32 v4, vcc, v18, v4
	v_addc_co_u32_e32 v5, vcc, v19, v5, vcc
	global_load_ushort v4, v[4:5], off
	s_waitcnt vmcnt(0)
	v_and_b32_e32 v4, 0x7fff, v4
	v_cmp_ne_u16_e32 vcc, 0, v4
	v_addc_co_u32_e32 v0, vcc, 0, v0, vcc
	v_mov_b32_e32 v7, v3
	v_mov_b32_e32 v6, v2
	;; [unrolled: 1-line block ×4, first 2 shown]
.LBB2_35:
	v_mov_b32_e32 v0, v4
	v_mov_b32_e32 v1, v5
	;; [unrolled: 1-line block ×4, first 2 shown]
.LBB2_36:
	s_or_b64 exec, exec, s[4:5]
	v_or_b32_e32 v20, 1, v8
	v_cmp_gt_i32_e32 vcc, s14, v20
	s_and_saveexec_b64 s[4:5], vcc
	s_cbranch_execz .LBB2_42
; %bb.37:
	s_andn2_b64 vcc, exec, s[0:1]
	s_cbranch_vccnz .LBB2_39
; %bb.38:
	global_load_ushort v21, v[12:13], off offset:2
	v_mov_b32_e32 v7, v3
	v_mov_b32_e32 v4, v0
	v_mov_b32_e32 v6, v2
	v_mov_b32_e32 v5, v1
	s_waitcnt vmcnt(0)
	v_and_b32_e32 v4, 0x7fff, v21
	v_cmp_ne_u16_e32 vcc, 0, v4
	v_addc_co_u32_e32 v4, vcc, 0, v0, vcc
	s_cbranch_execz .LBB2_40
	s_branch .LBB2_41
.LBB2_39:
                                        ; implicit-def: $vgpr4_vgpr5_vgpr6_vgpr7
.LBB2_40:
	v_mad_u64_u32 v[4:5], s[6:7], s18, v20, 0
	v_mad_u64_u32 v[5:6], s[6:7], s19, v20, v[5:6]
	v_lshlrev_b64 v[4:5], 1, v[4:5]
	v_add_co_u32_e32 v4, vcc, v18, v4
	v_addc_co_u32_e32 v5, vcc, v19, v5, vcc
	global_load_ushort v4, v[4:5], off
	s_waitcnt vmcnt(0)
	v_and_b32_e32 v4, 0x7fff, v4
	v_cmp_ne_u16_e32 vcc, 0, v4
	v_addc_co_u32_e32 v0, vcc, 0, v0, vcc
	v_mov_b32_e32 v7, v3
	v_mov_b32_e32 v6, v2
	v_mov_b32_e32 v5, v1
	v_mov_b32_e32 v4, v0
.LBB2_41:
	v_mov_b32_e32 v0, v4
	v_mov_b32_e32 v1, v5
	v_mov_b32_e32 v2, v6
	v_mov_b32_e32 v3, v7
.LBB2_42:
	s_or_b64 exec, exec, s[4:5]
	v_or_b32_e32 v20, 2, v8
	v_cmp_gt_i32_e32 vcc, s14, v20
	s_and_saveexec_b64 s[4:5], vcc
	s_cbranch_execz .LBB2_48
; %bb.43:
	s_andn2_b64 vcc, exec, s[0:1]
	s_cbranch_vccnz .LBB2_45
; %bb.44:
	global_load_ushort v21, v[12:13], off offset:4
	v_mov_b32_e32 v7, v3
	v_mov_b32_e32 v4, v0
	v_mov_b32_e32 v6, v2
	v_mov_b32_e32 v5, v1
	s_waitcnt vmcnt(0)
	v_and_b32_e32 v4, 0x7fff, v21
	v_cmp_ne_u16_e32 vcc, 0, v4
	v_addc_co_u32_e32 v4, vcc, 0, v0, vcc
	s_cbranch_execz .LBB2_46
	s_branch .LBB2_47
.LBB2_45:
                                        ; implicit-def: $vgpr4_vgpr5_vgpr6_vgpr7
.LBB2_46:
	v_mad_u64_u32 v[4:5], s[6:7], s18, v20, 0
	v_mad_u64_u32 v[5:6], s[6:7], s19, v20, v[5:6]
	v_lshlrev_b64 v[4:5], 1, v[4:5]
	v_add_co_u32_e32 v4, vcc, v18, v4
	v_addc_co_u32_e32 v5, vcc, v19, v5, vcc
	global_load_ushort v4, v[4:5], off
	s_waitcnt vmcnt(0)
	v_and_b32_e32 v4, 0x7fff, v4
	v_cmp_ne_u16_e32 vcc, 0, v4
	v_addc_co_u32_e32 v0, vcc, 0, v0, vcc
	v_mov_b32_e32 v7, v3
	v_mov_b32_e32 v6, v2
	v_mov_b32_e32 v5, v1
	v_mov_b32_e32 v4, v0
.LBB2_47:
	v_mov_b32_e32 v0, v4
	v_mov_b32_e32 v1, v5
	v_mov_b32_e32 v2, v6
	v_mov_b32_e32 v3, v7
.LBB2_48:
	;; [unrolled: 43-line block ×3, first 2 shown]
	s_or_b64 exec, exec, s[4:5]
.LBB2_55:
	s_or_b64 exec, exec, s[2:3]
	v_cmp_gt_i32_e32 vcc, s13, v16
	s_and_saveexec_b64 s[2:3], vcc
	s_cbranch_execz .LBB2_81
; %bb.56:
	v_ashrrev_i32_e32 v6, 31, v16
	v_mul_lo_u32 v7, s19, v16
	v_mad_u64_u32 v[4:5], s[4:5], s18, v16, 0
	v_mul_lo_u32 v6, s18, v6
	v_add3_u32 v5, v5, v6, v7
	v_lshlrev_b64 v[4:5], 1, v[4:5]
	v_mov_b32_e32 v6, s17
	v_add_co_u32_e32 v12, vcc, v9, v4
	v_addc_co_u32_e32 v13, vcc, v17, v5, vcc
	v_lshlrev_b64 v[4:5], 1, v[10:11]
	v_add_co_u32_e32 v16, vcc, s16, v4
	v_addc_co_u32_e32 v18, vcc, v6, v5, vcc
	v_cmp_gt_i32_e32 vcc, s14, v8
	s_and_saveexec_b64 s[4:5], vcc
	s_cbranch_execz .LBB2_62
; %bb.57:
	s_andn2_b64 vcc, exec, s[0:1]
	s_cbranch_vccnz .LBB2_59
; %bb.58:
	global_load_ushort v19, v[12:13], off
	v_mov_b32_e32 v7, v3
	v_mov_b32_e32 v5, v1
	;; [unrolled: 1-line block ×4, first 2 shown]
	s_waitcnt vmcnt(0)
	v_and_b32_e32 v5, 0x7fff, v19
	v_cmp_ne_u16_e32 vcc, 0, v5
	v_addc_co_u32_e32 v5, vcc, 0, v1, vcc
	s_cbranch_execz .LBB2_60
	s_branch .LBB2_61
.LBB2_59:
                                        ; implicit-def: $vgpr4_vgpr5_vgpr6_vgpr7
.LBB2_60:
	v_mad_u64_u32 v[4:5], s[6:7], s18, v8, 0
	v_mad_u64_u32 v[5:6], s[6:7], s19, v8, v[5:6]
	v_lshlrev_b64 v[4:5], 1, v[4:5]
	v_add_co_u32_e32 v4, vcc, v16, v4
	v_addc_co_u32_e32 v5, vcc, v18, v5, vcc
	global_load_ushort v4, v[4:5], off offset:128
	s_waitcnt vmcnt(0)
	v_and_b32_e32 v4, 0x7fff, v4
	v_cmp_ne_u16_e32 vcc, 0, v4
	v_addc_co_u32_e32 v1, vcc, 0, v1, vcc
	v_mov_b32_e32 v7, v3
	v_mov_b32_e32 v6, v2
	;; [unrolled: 1-line block ×4, first 2 shown]
.LBB2_61:
	v_mov_b32_e32 v0, v4
	v_mov_b32_e32 v1, v5
	;; [unrolled: 1-line block ×4, first 2 shown]
.LBB2_62:
	s_or_b64 exec, exec, s[4:5]
	v_or_b32_e32 v19, 1, v8
	v_cmp_gt_i32_e32 vcc, s14, v19
	s_and_saveexec_b64 s[4:5], vcc
	s_cbranch_execz .LBB2_68
; %bb.63:
	s_andn2_b64 vcc, exec, s[0:1]
	s_cbranch_vccnz .LBB2_65
; %bb.64:
	global_load_ushort v20, v[12:13], off offset:2
	v_mov_b32_e32 v7, v3
	v_mov_b32_e32 v5, v1
	v_mov_b32_e32 v6, v2
	v_mov_b32_e32 v4, v0
	s_waitcnt vmcnt(0)
	v_and_b32_e32 v5, 0x7fff, v20
	v_cmp_ne_u16_e32 vcc, 0, v5
	v_addc_co_u32_e32 v5, vcc, 0, v1, vcc
	s_cbranch_execz .LBB2_66
	s_branch .LBB2_67
.LBB2_65:
                                        ; implicit-def: $vgpr4_vgpr5_vgpr6_vgpr7
.LBB2_66:
	v_mad_u64_u32 v[4:5], s[6:7], s18, v19, 0
	v_mad_u64_u32 v[5:6], s[6:7], s19, v19, v[5:6]
	v_lshlrev_b64 v[4:5], 1, v[4:5]
	v_add_co_u32_e32 v4, vcc, v16, v4
	v_addc_co_u32_e32 v5, vcc, v18, v5, vcc
	global_load_ushort v4, v[4:5], off offset:128
	s_waitcnt vmcnt(0)
	v_and_b32_e32 v4, 0x7fff, v4
	v_cmp_ne_u16_e32 vcc, 0, v4
	v_addc_co_u32_e32 v1, vcc, 0, v1, vcc
	v_mov_b32_e32 v7, v3
	v_mov_b32_e32 v6, v2
	v_mov_b32_e32 v5, v1
	v_mov_b32_e32 v4, v0
.LBB2_67:
	v_mov_b32_e32 v0, v4
	v_mov_b32_e32 v1, v5
	v_mov_b32_e32 v2, v6
	v_mov_b32_e32 v3, v7
.LBB2_68:
	s_or_b64 exec, exec, s[4:5]
	v_or_b32_e32 v19, 2, v8
	v_cmp_gt_i32_e32 vcc, s14, v19
	s_and_saveexec_b64 s[4:5], vcc
	s_cbranch_execz .LBB2_74
; %bb.69:
	s_andn2_b64 vcc, exec, s[0:1]
	s_cbranch_vccnz .LBB2_71
; %bb.70:
	global_load_ushort v20, v[12:13], off offset:4
	v_mov_b32_e32 v7, v3
	v_mov_b32_e32 v5, v1
	v_mov_b32_e32 v6, v2
	v_mov_b32_e32 v4, v0
	s_waitcnt vmcnt(0)
	v_and_b32_e32 v5, 0x7fff, v20
	v_cmp_ne_u16_e32 vcc, 0, v5
	v_addc_co_u32_e32 v5, vcc, 0, v1, vcc
	s_cbranch_execz .LBB2_72
	s_branch .LBB2_73
.LBB2_71:
                                        ; implicit-def: $vgpr4_vgpr5_vgpr6_vgpr7
.LBB2_72:
	v_mad_u64_u32 v[4:5], s[6:7], s18, v19, 0
	v_mad_u64_u32 v[5:6], s[6:7], s19, v19, v[5:6]
	v_lshlrev_b64 v[4:5], 1, v[4:5]
	v_add_co_u32_e32 v4, vcc, v16, v4
	v_addc_co_u32_e32 v5, vcc, v18, v5, vcc
	global_load_ushort v4, v[4:5], off offset:128
	s_waitcnt vmcnt(0)
	v_and_b32_e32 v4, 0x7fff, v4
	v_cmp_ne_u16_e32 vcc, 0, v4
	v_addc_co_u32_e32 v1, vcc, 0, v1, vcc
	v_mov_b32_e32 v7, v3
	v_mov_b32_e32 v6, v2
	v_mov_b32_e32 v5, v1
	v_mov_b32_e32 v4, v0
.LBB2_73:
	v_mov_b32_e32 v0, v4
	v_mov_b32_e32 v1, v5
	v_mov_b32_e32 v2, v6
	v_mov_b32_e32 v3, v7
.LBB2_74:
	s_or_b64 exec, exec, s[4:5]
	v_or_b32_e32 v19, 3, v8
	v_cmp_gt_i32_e32 vcc, s14, v19
	s_and_saveexec_b64 s[4:5], vcc
	s_cbranch_execz .LBB2_80
; %bb.75:
	s_andn2_b64 vcc, exec, s[0:1]
	s_cbranch_vccnz .LBB2_77
; %bb.76:
	global_load_ushort v12, v[12:13], off offset:6
	v_mov_b32_e32 v7, v3
	v_mov_b32_e32 v5, v1
	v_mov_b32_e32 v6, v2
	v_mov_b32_e32 v4, v0
	s_waitcnt vmcnt(0)
	v_and_b32_e32 v5, 0x7fff, v12
	v_cmp_ne_u16_e32 vcc, 0, v5
	v_addc_co_u32_e32 v5, vcc, 0, v1, vcc
	s_cbranch_execz .LBB2_78
	s_branch .LBB2_79
.LBB2_77:
                                        ; implicit-def: $vgpr4_vgpr5_vgpr6_vgpr7
.LBB2_78:
	v_mad_u64_u32 v[4:5], s[6:7], s18, v19, 0
	v_mad_u64_u32 v[5:6], s[6:7], s19, v19, v[5:6]
	v_lshlrev_b64 v[4:5], 1, v[4:5]
	v_add_co_u32_e32 v4, vcc, v16, v4
	v_addc_co_u32_e32 v5, vcc, v18, v5, vcc
	global_load_ushort v4, v[4:5], off offset:128
	s_waitcnt vmcnt(0)
	v_and_b32_e32 v4, 0x7fff, v4
	v_cmp_ne_u16_e32 vcc, 0, v4
	v_addc_co_u32_e32 v1, vcc, 0, v1, vcc
	v_mov_b32_e32 v7, v3
	v_mov_b32_e32 v6, v2
	v_mov_b32_e32 v5, v1
	v_mov_b32_e32 v4, v0
.LBB2_79:
	v_mov_b32_e32 v0, v4
	v_mov_b32_e32 v1, v5
	v_mov_b32_e32 v2, v6
	v_mov_b32_e32 v3, v7
.LBB2_80:
	s_or_b64 exec, exec, s[4:5]
.LBB2_81:
	s_or_b64 exec, exec, s[2:3]
	v_or_b32_e32 v4, 0x80, v10
	v_cmp_gt_i32_e32 vcc, s13, v4
	s_and_saveexec_b64 s[2:3], vcc
	s_cbranch_execz .LBB2_107
; %bb.82:
	v_ashrrev_i32_e32 v6, 31, v4
	v_mul_lo_u32 v7, s19, v4
	v_mad_u64_u32 v[4:5], s[4:5], s18, v4, 0
	v_mul_lo_u32 v6, s18, v6
	v_add3_u32 v5, v5, v6, v7
	v_lshlrev_b64 v[4:5], 1, v[4:5]
	v_mov_b32_e32 v6, s17
	v_add_co_u32_e32 v12, vcc, v9, v4
	v_addc_co_u32_e32 v13, vcc, v17, v5, vcc
	v_lshlrev_b64 v[4:5], 1, v[10:11]
	v_add_co_u32_e32 v16, vcc, s16, v4
	v_addc_co_u32_e32 v18, vcc, v6, v5, vcc
	v_cmp_gt_i32_e32 vcc, s14, v8
	s_and_saveexec_b64 s[4:5], vcc
	s_cbranch_execz .LBB2_88
; %bb.83:
	s_andn2_b64 vcc, exec, s[0:1]
	s_cbranch_vccnz .LBB2_85
; %bb.84:
	global_load_ushort v19, v[12:13], off
	v_mov_b32_e32 v7, v3
	v_mov_b32_e32 v6, v2
	;; [unrolled: 1-line block ×4, first 2 shown]
	s_waitcnt vmcnt(0)
	v_and_b32_e32 v6, 0x7fff, v19
	v_cmp_ne_u16_e32 vcc, 0, v6
	v_addc_co_u32_e32 v6, vcc, 0, v2, vcc
	s_cbranch_execz .LBB2_86
	s_branch .LBB2_87
.LBB2_85:
                                        ; implicit-def: $vgpr4_vgpr5_vgpr6_vgpr7
.LBB2_86:
	v_mad_u64_u32 v[4:5], s[6:7], s18, v8, 0
	v_mad_u64_u32 v[5:6], s[6:7], s19, v8, v[5:6]
	v_lshlrev_b64 v[4:5], 1, v[4:5]
	v_add_co_u32_e32 v4, vcc, v16, v4
	v_addc_co_u32_e32 v5, vcc, v18, v5, vcc
	global_load_ushort v4, v[4:5], off offset:256
	s_waitcnt vmcnt(0)
	v_and_b32_e32 v4, 0x7fff, v4
	v_cmp_ne_u16_e32 vcc, 0, v4
	v_addc_co_u32_e32 v2, vcc, 0, v2, vcc
	v_mov_b32_e32 v7, v3
	v_mov_b32_e32 v6, v2
	;; [unrolled: 1-line block ×4, first 2 shown]
.LBB2_87:
	v_mov_b32_e32 v0, v4
	v_mov_b32_e32 v1, v5
	;; [unrolled: 1-line block ×4, first 2 shown]
.LBB2_88:
	s_or_b64 exec, exec, s[4:5]
	v_or_b32_e32 v19, 1, v8
	v_cmp_gt_i32_e32 vcc, s14, v19
	s_and_saveexec_b64 s[4:5], vcc
	s_cbranch_execz .LBB2_94
; %bb.89:
	s_andn2_b64 vcc, exec, s[0:1]
	s_cbranch_vccnz .LBB2_91
; %bb.90:
	global_load_ushort v20, v[12:13], off offset:2
	v_mov_b32_e32 v7, v3
	v_mov_b32_e32 v6, v2
	v_mov_b32_e32 v5, v1
	v_mov_b32_e32 v4, v0
	s_waitcnt vmcnt(0)
	v_and_b32_e32 v6, 0x7fff, v20
	v_cmp_ne_u16_e32 vcc, 0, v6
	v_addc_co_u32_e32 v6, vcc, 0, v2, vcc
	s_cbranch_execz .LBB2_92
	s_branch .LBB2_93
.LBB2_91:
                                        ; implicit-def: $vgpr4_vgpr5_vgpr6_vgpr7
.LBB2_92:
	v_mad_u64_u32 v[4:5], s[6:7], s18, v19, 0
	v_mad_u64_u32 v[5:6], s[6:7], s19, v19, v[5:6]
	v_lshlrev_b64 v[4:5], 1, v[4:5]
	v_add_co_u32_e32 v4, vcc, v16, v4
	v_addc_co_u32_e32 v5, vcc, v18, v5, vcc
	global_load_ushort v4, v[4:5], off offset:256
	s_waitcnt vmcnt(0)
	v_and_b32_e32 v4, 0x7fff, v4
	v_cmp_ne_u16_e32 vcc, 0, v4
	v_addc_co_u32_e32 v2, vcc, 0, v2, vcc
	v_mov_b32_e32 v7, v3
	v_mov_b32_e32 v6, v2
	v_mov_b32_e32 v5, v1
	v_mov_b32_e32 v4, v0
.LBB2_93:
	v_mov_b32_e32 v0, v4
	v_mov_b32_e32 v1, v5
	v_mov_b32_e32 v2, v6
	v_mov_b32_e32 v3, v7
.LBB2_94:
	s_or_b64 exec, exec, s[4:5]
	v_or_b32_e32 v19, 2, v8
	v_cmp_gt_i32_e32 vcc, s14, v19
	s_and_saveexec_b64 s[4:5], vcc
	s_cbranch_execz .LBB2_100
; %bb.95:
	s_andn2_b64 vcc, exec, s[0:1]
	s_cbranch_vccnz .LBB2_97
; %bb.96:
	global_load_ushort v20, v[12:13], off offset:4
	v_mov_b32_e32 v7, v3
	v_mov_b32_e32 v6, v2
	v_mov_b32_e32 v5, v1
	v_mov_b32_e32 v4, v0
	s_waitcnt vmcnt(0)
	v_and_b32_e32 v6, 0x7fff, v20
	v_cmp_ne_u16_e32 vcc, 0, v6
	v_addc_co_u32_e32 v6, vcc, 0, v2, vcc
	s_cbranch_execz .LBB2_98
	s_branch .LBB2_99
.LBB2_97:
                                        ; implicit-def: $vgpr4_vgpr5_vgpr6_vgpr7
.LBB2_98:
	v_mad_u64_u32 v[4:5], s[6:7], s18, v19, 0
	v_mad_u64_u32 v[5:6], s[6:7], s19, v19, v[5:6]
	v_lshlrev_b64 v[4:5], 1, v[4:5]
	v_add_co_u32_e32 v4, vcc, v16, v4
	v_addc_co_u32_e32 v5, vcc, v18, v5, vcc
	global_load_ushort v4, v[4:5], off offset:256
	s_waitcnt vmcnt(0)
	v_and_b32_e32 v4, 0x7fff, v4
	v_cmp_ne_u16_e32 vcc, 0, v4
	v_addc_co_u32_e32 v2, vcc, 0, v2, vcc
	v_mov_b32_e32 v7, v3
	v_mov_b32_e32 v6, v2
	v_mov_b32_e32 v5, v1
	v_mov_b32_e32 v4, v0
.LBB2_99:
	v_mov_b32_e32 v0, v4
	v_mov_b32_e32 v1, v5
	v_mov_b32_e32 v2, v6
	v_mov_b32_e32 v3, v7
.LBB2_100:
	;; [unrolled: 43-line block ×3, first 2 shown]
	s_or_b64 exec, exec, s[4:5]
.LBB2_107:
	s_or_b64 exec, exec, s[2:3]
	v_or_b32_e32 v4, 0xc0, v10
	v_cmp_gt_i32_e32 vcc, s13, v4
	s_and_saveexec_b64 s[2:3], vcc
	s_cbranch_execz .LBB2_133
; %bb.108:
	v_ashrrev_i32_e32 v6, 31, v4
	v_mul_lo_u32 v7, s19, v4
	v_mad_u64_u32 v[4:5], s[4:5], s18, v4, 0
	v_mul_lo_u32 v6, s18, v6
	v_add3_u32 v5, v5, v6, v7
	v_lshlrev_b64 v[4:5], 1, v[4:5]
	v_mov_b32_e32 v6, s17
	v_add_co_u32_e32 v12, vcc, v9, v4
	v_addc_co_u32_e32 v13, vcc, v17, v5, vcc
	v_lshlrev_b64 v[4:5], 1, v[10:11]
	v_add_co_u32_e32 v9, vcc, s16, v4
	v_addc_co_u32_e32 v10, vcc, v6, v5, vcc
	v_cndmask_b32_e64 v4, 0, 1, s[0:1]
	v_cmp_gt_i32_e32 vcc, s14, v8
	v_cmp_ne_u32_e64 s[0:1], 1, v4
	s_and_saveexec_b64 s[4:5], vcc
	s_cbranch_execz .LBB2_114
; %bb.109:
	s_and_b64 vcc, exec, s[0:1]
	s_cbranch_vccnz .LBB2_111
; %bb.110:
	global_load_ushort v11, v[12:13], off
	v_mov_b32_e32 v7, v3
	v_mov_b32_e32 v6, v2
	;; [unrolled: 1-line block ×4, first 2 shown]
	s_waitcnt vmcnt(0)
	v_and_b32_e32 v7, 0x7fff, v11
	v_cmp_ne_u16_e32 vcc, 0, v7
	v_addc_co_u32_e32 v7, vcc, 0, v3, vcc
	s_cbranch_execz .LBB2_112
	s_branch .LBB2_113
.LBB2_111:
                                        ; implicit-def: $vgpr4_vgpr5_vgpr6_vgpr7
.LBB2_112:
	v_mad_u64_u32 v[4:5], s[6:7], s18, v8, 0
	v_mad_u64_u32 v[5:6], s[6:7], s19, v8, v[5:6]
	v_lshlrev_b64 v[4:5], 1, v[4:5]
	v_add_co_u32_e32 v4, vcc, v9, v4
	v_addc_co_u32_e32 v5, vcc, v10, v5, vcc
	global_load_ushort v4, v[4:5], off offset:384
	s_waitcnt vmcnt(0)
	v_and_b32_e32 v4, 0x7fff, v4
	v_cmp_ne_u16_e32 vcc, 0, v4
	v_addc_co_u32_e32 v3, vcc, 0, v3, vcc
	v_mov_b32_e32 v7, v3
	v_mov_b32_e32 v6, v2
	;; [unrolled: 1-line block ×4, first 2 shown]
.LBB2_113:
	v_mov_b32_e32 v0, v4
	v_mov_b32_e32 v1, v5
	;; [unrolled: 1-line block ×4, first 2 shown]
.LBB2_114:
	s_or_b64 exec, exec, s[4:5]
	v_or_b32_e32 v11, 1, v8
	v_cmp_gt_i32_e32 vcc, s14, v11
	s_and_saveexec_b64 s[4:5], vcc
	s_cbranch_execz .LBB2_120
; %bb.115:
	s_and_b64 vcc, exec, s[0:1]
	s_cbranch_vccnz .LBB2_117
; %bb.116:
	global_load_ushort v16, v[12:13], off offset:2
	v_mov_b32_e32 v7, v3
	v_mov_b32_e32 v6, v2
	v_mov_b32_e32 v5, v1
	v_mov_b32_e32 v4, v0
	s_waitcnt vmcnt(0)
	v_and_b32_e32 v7, 0x7fff, v16
	v_cmp_ne_u16_e32 vcc, 0, v7
	v_addc_co_u32_e32 v7, vcc, 0, v3, vcc
	s_cbranch_execz .LBB2_118
	s_branch .LBB2_119
.LBB2_117:
                                        ; implicit-def: $vgpr4_vgpr5_vgpr6_vgpr7
.LBB2_118:
	v_mad_u64_u32 v[4:5], s[6:7], s18, v11, 0
	v_mad_u64_u32 v[5:6], s[6:7], s19, v11, v[5:6]
	v_lshlrev_b64 v[4:5], 1, v[4:5]
	v_add_co_u32_e32 v4, vcc, v9, v4
	v_addc_co_u32_e32 v5, vcc, v10, v5, vcc
	global_load_ushort v4, v[4:5], off offset:384
	s_waitcnt vmcnt(0)
	v_and_b32_e32 v4, 0x7fff, v4
	v_cmp_ne_u16_e32 vcc, 0, v4
	v_addc_co_u32_e32 v3, vcc, 0, v3, vcc
	v_mov_b32_e32 v7, v3
	v_mov_b32_e32 v6, v2
	v_mov_b32_e32 v5, v1
	v_mov_b32_e32 v4, v0
.LBB2_119:
	v_mov_b32_e32 v0, v4
	v_mov_b32_e32 v1, v5
	v_mov_b32_e32 v2, v6
	v_mov_b32_e32 v3, v7
.LBB2_120:
	s_or_b64 exec, exec, s[4:5]
	v_or_b32_e32 v11, 2, v8
	v_cmp_gt_i32_e32 vcc, s14, v11
	s_and_saveexec_b64 s[4:5], vcc
	s_cbranch_execz .LBB2_126
; %bb.121:
	s_and_b64 vcc, exec, s[0:1]
	s_cbranch_vccnz .LBB2_123
; %bb.122:
	global_load_ushort v16, v[12:13], off offset:4
	v_mov_b32_e32 v7, v3
	v_mov_b32_e32 v6, v2
	v_mov_b32_e32 v5, v1
	v_mov_b32_e32 v4, v0
	s_waitcnt vmcnt(0)
	v_and_b32_e32 v7, 0x7fff, v16
	v_cmp_ne_u16_e32 vcc, 0, v7
	v_addc_co_u32_e32 v7, vcc, 0, v3, vcc
	s_cbranch_execz .LBB2_124
	s_branch .LBB2_125
.LBB2_123:
                                        ; implicit-def: $vgpr4_vgpr5_vgpr6_vgpr7
.LBB2_124:
	v_mad_u64_u32 v[4:5], s[6:7], s18, v11, 0
	v_mad_u64_u32 v[5:6], s[6:7], s19, v11, v[5:6]
	v_lshlrev_b64 v[4:5], 1, v[4:5]
	v_add_co_u32_e32 v4, vcc, v9, v4
	v_addc_co_u32_e32 v5, vcc, v10, v5, vcc
	global_load_ushort v4, v[4:5], off offset:384
	s_waitcnt vmcnt(0)
	v_and_b32_e32 v4, 0x7fff, v4
	v_cmp_ne_u16_e32 vcc, 0, v4
	v_addc_co_u32_e32 v3, vcc, 0, v3, vcc
	v_mov_b32_e32 v7, v3
	v_mov_b32_e32 v6, v2
	v_mov_b32_e32 v5, v1
	v_mov_b32_e32 v4, v0
.LBB2_125:
	v_mov_b32_e32 v0, v4
	v_mov_b32_e32 v1, v5
	v_mov_b32_e32 v2, v6
	v_mov_b32_e32 v3, v7
.LBB2_126:
	;; [unrolled: 43-line block ×3, first 2 shown]
	s_or_b64 exec, exec, s[4:5]
.LBB2_133:
	s_or_b64 exec, exec, s[2:3]
.LBB2_134:
	v_lshlrev_b32_e32 v4, 4, v14
	v_lshlrev_b32_e32 v5, 2, v15
	s_mov_b32 s0, 0x7ffffc00
	v_and_or_b32 v4, v4, s0, v5
	s_movk_i32 s0, 0x100
	v_cmp_gt_u32_e32 vcc, s0, v14
	ds_write2st64_b32 v4, v0, v1 offset1:1
	ds_write2st64_b32 v4, v2, v3 offset0:2 offset1:3
	s_waitcnt lgkmcnt(0)
	s_barrier
	s_and_saveexec_b64 s[0:1], vcc
	s_cbranch_execz .LBB2_137
; %bb.135:
	v_lshlrev_b32_e32 v11, 2, v14
	ds_read2st64_b32 v[1:2], v11 offset1:4
	ds_read2st64_b32 v[3:4], v11 offset0:8 offset1:12
	ds_read2st64_b32 v[5:6], v11 offset0:16 offset1:20
	ds_read2st64_b32 v[7:8], v11 offset0:24 offset1:28
	v_add_u32_e32 v0, s15, v14
	s_waitcnt lgkmcnt(3)
	v_add_u32_e32 v1, v1, v2
	s_waitcnt lgkmcnt(2)
	v_add3_u32 v1, v1, v3, v4
	s_waitcnt lgkmcnt(1)
	v_add3_u32 v12, v1, v5, v6
	ds_read2st64_b32 v[1:2], v11 offset0:32 offset1:36
	ds_read2st64_b32 v[3:4], v11 offset0:40 offset1:44
	;; [unrolled: 1-line block ×4, first 2 shown]
	s_waitcnt lgkmcnt(4)
	v_add3_u32 v7, v12, v7, v8
	s_waitcnt lgkmcnt(3)
	v_add3_u32 v1, v7, v1, v2
	;; [unrolled: 2-line block ×5, first 2 shown]
	v_cmp_gt_i32_e32 vcc, s13, v0
	ds_write_b32 v11, v2
	s_and_b64 exec, exec, vcc
	s_cbranch_execz .LBB2_137
; %bb.136:
	v_ashrrev_i32_e32 v1, 31, v0
	v_lshlrev_b64 v[0:1], 2, v[0:1]
	v_mov_b32_e32 v3, s11
	v_add_co_u32_e32 v0, vcc, s10, v0
	v_addc_co_u32_e32 v1, vcc, v3, v1, vcc
	global_store_dword v[0:1], v2, off
.LBB2_137:
	s_endpgm
	.section	.rodata,"a",@progbits
	.p2align	6, 0x0
	.amdhsa_kernel _ZN9rocsparseL14nnz_kernel_rowILi64ELi16Eii18rocsparse_bfloat16EEv16rocsparse_order_T2_S3_PKT3_lPT1_
		.amdhsa_group_segment_fixed_size 16384
		.amdhsa_private_segment_fixed_size 0
		.amdhsa_kernarg_size 296
		.amdhsa_user_sgpr_count 6
		.amdhsa_user_sgpr_private_segment_buffer 1
		.amdhsa_user_sgpr_dispatch_ptr 0
		.amdhsa_user_sgpr_queue_ptr 0
		.amdhsa_user_sgpr_kernarg_segment_ptr 1
		.amdhsa_user_sgpr_dispatch_id 0
		.amdhsa_user_sgpr_flat_scratch_init 0
		.amdhsa_user_sgpr_private_segment_size 0
		.amdhsa_uses_dynamic_stack 0
		.amdhsa_system_sgpr_private_segment_wavefront_offset 0
		.amdhsa_system_sgpr_workgroup_id_x 1
		.amdhsa_system_sgpr_workgroup_id_y 0
		.amdhsa_system_sgpr_workgroup_id_z 0
		.amdhsa_system_sgpr_workgroup_info 0
		.amdhsa_system_vgpr_workitem_id 1
		.amdhsa_next_free_vgpr 30
		.amdhsa_next_free_sgpr 61
		.amdhsa_reserve_vcc 1
		.amdhsa_reserve_flat_scratch 0
		.amdhsa_float_round_mode_32 0
		.amdhsa_float_round_mode_16_64 0
		.amdhsa_float_denorm_mode_32 3
		.amdhsa_float_denorm_mode_16_64 3
		.amdhsa_dx10_clamp 1
		.amdhsa_ieee_mode 1
		.amdhsa_fp16_overflow 0
		.amdhsa_exception_fp_ieee_invalid_op 0
		.amdhsa_exception_fp_denorm_src 0
		.amdhsa_exception_fp_ieee_div_zero 0
		.amdhsa_exception_fp_ieee_overflow 0
		.amdhsa_exception_fp_ieee_underflow 0
		.amdhsa_exception_fp_ieee_inexact 0
		.amdhsa_exception_int_div_zero 0
	.end_amdhsa_kernel
	.section	.text._ZN9rocsparseL14nnz_kernel_rowILi64ELi16Eii18rocsparse_bfloat16EEv16rocsparse_order_T2_S3_PKT3_lPT1_,"axG",@progbits,_ZN9rocsparseL14nnz_kernel_rowILi64ELi16Eii18rocsparse_bfloat16EEv16rocsparse_order_T2_S3_PKT3_lPT1_,comdat
.Lfunc_end2:
	.size	_ZN9rocsparseL14nnz_kernel_rowILi64ELi16Eii18rocsparse_bfloat16EEv16rocsparse_order_T2_S3_PKT3_lPT1_, .Lfunc_end2-_ZN9rocsparseL14nnz_kernel_rowILi64ELi16Eii18rocsparse_bfloat16EEv16rocsparse_order_T2_S3_PKT3_lPT1_
                                        ; -- End function
	.set _ZN9rocsparseL14nnz_kernel_rowILi64ELi16Eii18rocsparse_bfloat16EEv16rocsparse_order_T2_S3_PKT3_lPT1_.num_vgpr, 30
	.set _ZN9rocsparseL14nnz_kernel_rowILi64ELi16Eii18rocsparse_bfloat16EEv16rocsparse_order_T2_S3_PKT3_lPT1_.num_agpr, 0
	.set _ZN9rocsparseL14nnz_kernel_rowILi64ELi16Eii18rocsparse_bfloat16EEv16rocsparse_order_T2_S3_PKT3_lPT1_.numbered_sgpr, 35
	.set _ZN9rocsparseL14nnz_kernel_rowILi64ELi16Eii18rocsparse_bfloat16EEv16rocsparse_order_T2_S3_PKT3_lPT1_.num_named_barrier, 0
	.set _ZN9rocsparseL14nnz_kernel_rowILi64ELi16Eii18rocsparse_bfloat16EEv16rocsparse_order_T2_S3_PKT3_lPT1_.private_seg_size, 0
	.set _ZN9rocsparseL14nnz_kernel_rowILi64ELi16Eii18rocsparse_bfloat16EEv16rocsparse_order_T2_S3_PKT3_lPT1_.uses_vcc, 1
	.set _ZN9rocsparseL14nnz_kernel_rowILi64ELi16Eii18rocsparse_bfloat16EEv16rocsparse_order_T2_S3_PKT3_lPT1_.uses_flat_scratch, 0
	.set _ZN9rocsparseL14nnz_kernel_rowILi64ELi16Eii18rocsparse_bfloat16EEv16rocsparse_order_T2_S3_PKT3_lPT1_.has_dyn_sized_stack, 0
	.set _ZN9rocsparseL14nnz_kernel_rowILi64ELi16Eii18rocsparse_bfloat16EEv16rocsparse_order_T2_S3_PKT3_lPT1_.has_recursion, 0
	.set _ZN9rocsparseL14nnz_kernel_rowILi64ELi16Eii18rocsparse_bfloat16EEv16rocsparse_order_T2_S3_PKT3_lPT1_.has_indirect_call, 0
	.section	.AMDGPU.csdata,"",@progbits
; Kernel info:
; codeLenInByte = 5664
; TotalNumSgprs: 39
; NumVgprs: 30
; ScratchSize: 0
; MemoryBound: 0
; FloatMode: 240
; IeeeMode: 1
; LDSByteSize: 16384 bytes/workgroup (compile time only)
; SGPRBlocks: 8
; VGPRBlocks: 7
; NumSGPRsForWavesPerEU: 65
; NumVGPRsForWavesPerEU: 30
; Occupancy: 8
; WaveLimiterHint : 0
; COMPUTE_PGM_RSRC2:SCRATCH_EN: 0
; COMPUTE_PGM_RSRC2:USER_SGPR: 6
; COMPUTE_PGM_RSRC2:TRAP_HANDLER: 0
; COMPUTE_PGM_RSRC2:TGID_X_EN: 1
; COMPUTE_PGM_RSRC2:TGID_Y_EN: 0
; COMPUTE_PGM_RSRC2:TGID_Z_EN: 0
; COMPUTE_PGM_RSRC2:TIDIG_COMP_CNT: 1
	.section	.text._ZN9rocsparseL14nnz_kernel_colILi256Eii18rocsparse_bfloat16EEv16rocsparse_order_T1_S3_PKT2_lPT0_,"axG",@progbits,_ZN9rocsparseL14nnz_kernel_colILi256Eii18rocsparse_bfloat16EEv16rocsparse_order_T1_S3_PKT2_lPT0_,comdat
	.globl	_ZN9rocsparseL14nnz_kernel_colILi256Eii18rocsparse_bfloat16EEv16rocsparse_order_T1_S3_PKT2_lPT0_ ; -- Begin function _ZN9rocsparseL14nnz_kernel_colILi256Eii18rocsparse_bfloat16EEv16rocsparse_order_T1_S3_PKT2_lPT0_
	.p2align	8
	.type	_ZN9rocsparseL14nnz_kernel_colILi256Eii18rocsparse_bfloat16EEv16rocsparse_order_T1_S3_PKT2_lPT0_,@function
_ZN9rocsparseL14nnz_kernel_colILi256Eii18rocsparse_bfloat16EEv16rocsparse_order_T1_S3_PKT2_lPT0_: ; @_ZN9rocsparseL14nnz_kernel_colILi256Eii18rocsparse_bfloat16EEv16rocsparse_order_T1_S3_PKT2_lPT0_
; %bb.0:
	s_load_dwordx2 s[8:9], s[4:5], 0x0
	s_load_dwordx4 s[0:3], s[4:5], 0x10
	s_waitcnt lgkmcnt(0)
	s_ashr_i32 s7, s9, 31
	s_lshr_b32 s7, s7, 24
	s_add_i32 s7, s9, s7
	s_and_b32 s10, s7, 0xffffff00
	s_cmp_eq_u32 s8, 1
	s_cbranch_scc1 .LBB3_6
; %bb.1:
	s_cmpk_lt_i32 s9, 0x100
	v_mov_b32_e32 v5, 0
	s_cbranch_scc1 .LBB3_7
; %bb.2:
	v_mad_u64_u32 v[1:2], s[12:13], s2, v0, 0
	s_ashr_i32 s7, s6, 31
	v_mov_b32_e32 v5, 0
	v_mad_u64_u32 v[2:3], s[12:13], s3, v0, v[2:3]
	s_lshl_b64 s[12:13], s[6:7], 1
	s_add_u32 s7, s0, s12
	v_lshlrev_b64 v[1:2], 1, v[1:2]
	s_addc_u32 s8, s1, s13
	v_mov_b32_e32 v3, s8
	v_add_co_u32_e32 v1, vcc, s7, v1
	s_lshl_b64 s[12:13], s[2:3], 9
	v_addc_co_u32_e32 v2, vcc, v3, v2, vcc
	s_mov_b32 s7, 0
	v_mov_b32_e32 v3, s13
	s_branch .LBB3_4
.LBB3_3:                                ;   in Loop: Header=BB3_4 Depth=1
	s_or_b64 exec, exec, s[14:15]
	s_addk_i32 s7, 0x100
	v_add_co_u32_e32 v1, vcc, s12, v1
	s_cmp_ge_i32 s7, s10
	v_addc_co_u32_e32 v2, vcc, v2, v3, vcc
	s_cbranch_scc1 .LBB3_7
.LBB3_4:                                ; =>This Inner Loop Header: Depth=1
	v_add_u32_e32 v4, s7, v0
	v_cmp_gt_i32_e32 vcc, s9, v4
	s_and_saveexec_b64 s[14:15], vcc
	s_cbranch_execz .LBB3_3
; %bb.5:                                ;   in Loop: Header=BB3_4 Depth=1
	global_load_ushort v4, v[1:2], off
	s_waitcnt vmcnt(0)
	v_and_b32_e32 v4, 0x7fff, v4
	v_cmp_ne_u16_e32 vcc, 0, v4
	v_addc_co_u32_e32 v5, vcc, 0, v5, vcc
	s_branch .LBB3_3
.LBB3_6:
                                        ; implicit-def: $vgpr5
	s_load_dwordx2 s[4:5], s[4:5], 0x20
	s_cbranch_execnz .LBB3_10
	s_branch .LBB3_16
.LBB3_7:
	v_add_u32_e32 v1, s10, v0
	v_cmp_gt_i32_e32 vcc, s9, v1
	s_and_saveexec_b64 s[12:13], vcc
	s_cbranch_execz .LBB3_9
; %bb.8:
	v_ashrrev_i32_e32 v2, 31, v1
	v_mul_lo_u32 v3, s3, v1
	v_mul_lo_u32 v4, s2, v2
	v_mad_u64_u32 v[1:2], s[14:15], s2, v1, 0
	s_ashr_i32 s7, s6, 31
	s_lshl_b64 s[14:15], s[6:7], 1
	v_add3_u32 v2, v2, v4, v3
	v_lshlrev_b64 v[1:2], 1, v[1:2]
	v_mov_b32_e32 v3, s1
	v_add_co_u32_e32 v1, vcc, s0, v1
	v_addc_co_u32_e32 v2, vcc, v3, v2, vcc
	v_mov_b32_e32 v3, s15
	v_add_co_u32_e32 v1, vcc, s14, v1
	v_addc_co_u32_e32 v2, vcc, v2, v3, vcc
	global_load_ushort v1, v[1:2], off
	s_waitcnt vmcnt(0)
	v_and_b32_e32 v1, 0x7fff, v1
	v_cmp_ne_u16_e32 vcc, 0, v1
	v_addc_co_u32_e32 v5, vcc, 0, v5, vcc
.LBB3_9:
	s_or_b64 exec, exec, s[12:13]
	s_load_dwordx2 s[4:5], s[4:5], 0x20
	s_branch .LBB3_16
.LBB3_10:
	s_ashr_i32 s7, s6, 31
	s_mul_hi_u32 s8, s2, s6
	s_mul_i32 s7, s2, s7
	s_add_i32 s7, s8, s7
	s_mul_i32 s3, s3, s6
	s_add_i32 s3, s7, s3
	s_mul_i32 s2, s2, s6
	v_cmp_gt_i32_e32 vcc, s9, v0
	s_lshl_b64 s[2:3], s[2:3], 1
	v_cndmask_b32_e32 v1, 0, v0, vcc
	s_add_u32 s0, s0, s2
	s_addc_u32 s1, s1, s3
	v_lshlrev_b32_e32 v1, 1, v1
	v_mov_b32_e32 v2, s1
	v_add_co_u32_e32 v1, vcc, s0, v1
	v_mov_b32_e32 v5, 0
	s_cmpk_lt_i32 s9, 0x100
	v_addc_co_u32_e32 v2, vcc, 0, v2, vcc
	s_cbranch_scc1 .LBB3_13
; %bb.11:
	v_mov_b32_e32 v4, v2
	v_mov_b32_e32 v5, 0
	s_mov_b32 s0, 0
	v_mov_b32_e32 v3, v1
.LBB3_12:                               ; =>This Inner Loop Header: Depth=1
	global_load_ushort v6, v[3:4], off
	v_add_co_u32_e32 v3, vcc, 0x200, v3
	v_addc_co_u32_e32 v4, vcc, 0, v4, vcc
	s_addk_i32 s0, 0x100
	s_cmp_ge_i32 s0, s10
	s_waitcnt vmcnt(0)
	v_and_b32_e32 v6, 0x7fff, v6
	v_cmp_ne_u16_e32 vcc, 0, v6
	v_addc_co_u32_e32 v5, vcc, 0, v5, vcc
	s_cbranch_scc0 .LBB3_12
.LBB3_13:
	v_add_u32_e32 v3, s10, v0
	v_cmp_gt_i32_e32 vcc, s9, v3
	s_and_saveexec_b64 s[0:1], vcc
	s_cbranch_execz .LBB3_15
; %bb.14:
	s_ashr_i32 s11, s10, 31
	s_lshl_b64 s[2:3], s[10:11], 1
	v_mov_b32_e32 v3, s3
	v_add_co_u32_e32 v1, vcc, s2, v1
	v_addc_co_u32_e32 v2, vcc, v2, v3, vcc
	global_load_ushort v1, v[1:2], off
	s_waitcnt vmcnt(0)
	v_and_b32_e32 v1, 0x7fff, v1
	v_cmp_ne_u16_e32 vcc, 0, v1
	v_addc_co_u32_e32 v5, vcc, 0, v5, vcc
.LBB3_15:
	s_or_b64 exec, exec, s[0:1]
.LBB3_16:
	v_lshlrev_b32_e32 v1, 2, v0
	s_cmpk_lt_i32 s9, 0x100
	s_mov_b64 s[0:1], -1
	v_cmp_eq_u32_e32 vcc, 0, v0
	ds_write_b32 v1, v5
	s_waitcnt lgkmcnt(0)
	s_cbranch_scc1 .LBB3_20
; %bb.17:
	s_and_b64 vcc, exec, s[0:1]
	s_cbranch_vccnz .LBB3_30
.LBB3_18:
	v_cmp_eq_u32_e32 vcc, 0, v0
	s_and_saveexec_b64 s[0:1], vcc
	s_cbranch_execnz .LBB3_47
.LBB3_19:
	s_endpgm
.LBB3_20:
	s_cmp_gt_i32 s9, 1
	s_cselect_b64 s[0:1], -1, 0
	s_mov_b32 s3, 1
	s_and_b64 s[10:11], vcc, s[0:1]
	s_barrier
	s_and_saveexec_b64 s[0:1], s[10:11]
	s_cbranch_execz .LBB3_29
; %bb.21:
	v_mov_b32_e32 v2, 0
	ds_read_b32 v2, v2
	s_add_i32 s2, s9, -1
	s_add_i32 s7, s9, -2
	s_cmp_lt_u32 s7, 7
	s_cbranch_scc1 .LBB3_25
; %bb.22:
	s_and_b32 s3, s2, -8
	s_mov_b32 s8, 0
	s_mov_b32 s7, 4
.LBB3_23:                               ; =>This Inner Loop Header: Depth=1
	v_mov_b32_e32 v9, s7
	ds_read2_b32 v[3:4], v9 offset1:1
	ds_read2_b32 v[5:6], v9 offset0:2 offset1:3
	ds_read2_b32 v[7:8], v9 offset0:4 offset1:5
	;; [unrolled: 1-line block ×3, first 2 shown]
	s_mov_b32 s9, s8
	s_waitcnt lgkmcnt(3)
	v_add_u32_e32 v2, v2, v3
	v_add_u32_e32 v2, v2, v4
	s_waitcnt lgkmcnt(2)
	v_add_u32_e32 v2, v2, v5
	v_add_u32_e32 v2, v2, v6
	;; [unrolled: 3-line block ×3, first 2 shown]
	s_add_i32 s7, s7, 32
	s_add_i32 s8, s8, 8
	s_waitcnt lgkmcnt(0)
	v_add_u32_e32 v2, v2, v9
	s_cmp_lg_u32 s3, s8
	v_add_u32_e32 v2, v2, v10
	s_cbranch_scc1 .LBB3_23
; %bb.24:
	s_add_i32 s3, s9, 9
.LBB3_25:
	s_and_b32 s2, s2, 7
	s_cmp_eq_u32 s2, 0
	s_cbranch_scc1 .LBB3_28
; %bb.26:
	s_lshl_b32 s3, s3, 2
.LBB3_27:                               ; =>This Inner Loop Header: Depth=1
	v_mov_b32_e32 v3, s3
	ds_read_b32 v3, v3
	s_add_i32 s3, s3, 4
	s_add_i32 s2, s2, -1
	s_cmp_lg_u32 s2, 0
	s_waitcnt lgkmcnt(0)
	v_add_u32_e32 v2, v2, v3
	s_cbranch_scc1 .LBB3_27
.LBB3_28:
	v_mov_b32_e32 v3, 0
	s_waitcnt lgkmcnt(0)
	ds_write_b32 v3, v2
.LBB3_29:
	s_or_b64 exec, exec, s[0:1]
	s_waitcnt lgkmcnt(0)
	s_barrier
	s_branch .LBB3_18
.LBB3_30:
	s_movk_i32 s0, 0x80
	v_cmp_gt_u32_e32 vcc, s0, v0
	s_barrier
	s_and_saveexec_b64 s[0:1], vcc
	s_cbranch_execz .LBB3_32
; %bb.31:
	ds_read2st64_b32 v[2:3], v1 offset1:2
	s_waitcnt lgkmcnt(0)
	v_add_u32_e32 v2, v2, v3
	ds_write_b32 v1, v2
.LBB3_32:
	s_or_b64 exec, exec, s[0:1]
	v_cmp_gt_u32_e32 vcc, 64, v0
	s_waitcnt lgkmcnt(0)
	s_barrier
	s_and_saveexec_b64 s[0:1], vcc
	s_cbranch_execz .LBB3_34
; %bb.33:
	ds_read2st64_b32 v[2:3], v1 offset1:1
	s_waitcnt lgkmcnt(0)
	v_add_u32_e32 v2, v2, v3
	ds_write_b32 v1, v2
.LBB3_34:
	s_or_b64 exec, exec, s[0:1]
	v_cmp_gt_u32_e32 vcc, 32, v0
	s_waitcnt lgkmcnt(0)
	s_barrier
	s_and_saveexec_b64 s[0:1], vcc
	s_cbranch_execz .LBB3_36
; %bb.35:
	ds_read2_b32 v[2:3], v1 offset1:32
	s_waitcnt lgkmcnt(0)
	v_add_u32_e32 v2, v2, v3
	ds_write_b32 v1, v2
.LBB3_36:
	s_or_b64 exec, exec, s[0:1]
	v_cmp_gt_u32_e32 vcc, 16, v0
	s_waitcnt lgkmcnt(0)
	s_barrier
	s_and_saveexec_b64 s[0:1], vcc
	s_cbranch_execz .LBB3_38
; %bb.37:
	ds_read2_b32 v[2:3], v1 offset1:16
	s_waitcnt lgkmcnt(0)
	v_add_u32_e32 v2, v2, v3
	ds_write_b32 v1, v2
.LBB3_38:
	;; [unrolled: 12-line block ×5, first 2 shown]
	s_or_b64 exec, exec, s[0:1]
	v_cmp_eq_u32_e32 vcc, 0, v0
	s_waitcnt lgkmcnt(0)
	s_barrier
	s_and_saveexec_b64 s[0:1], vcc
	s_cbranch_execz .LBB3_46
; %bb.45:
	v_mov_b32_e32 v3, 0
	ds_read_b64 v[1:2], v3
	s_waitcnt lgkmcnt(0)
	v_add_u32_e32 v1, v1, v2
	ds_write_b32 v3, v1
.LBB3_46:
	s_or_b64 exec, exec, s[0:1]
	s_waitcnt lgkmcnt(0)
	s_barrier
	v_cmp_eq_u32_e32 vcc, 0, v0
	s_and_saveexec_b64 s[0:1], vcc
	s_cbranch_execz .LBB3_19
.LBB3_47:
	v_mov_b32_e32 v0, 0
	ds_read_b32 v1, v0
	s_ashr_i32 s7, s6, 31
	s_lshl_b64 s[0:1], s[6:7], 2
	s_add_u32 s0, s4, s0
	s_addc_u32 s1, s5, s1
	s_waitcnt lgkmcnt(0)
	global_store_dword v0, v1, s[0:1]
	s_endpgm
	.section	.rodata,"a",@progbits
	.p2align	6, 0x0
	.amdhsa_kernel _ZN9rocsparseL14nnz_kernel_colILi256Eii18rocsparse_bfloat16EEv16rocsparse_order_T1_S3_PKT2_lPT0_
		.amdhsa_group_segment_fixed_size 1024
		.amdhsa_private_segment_fixed_size 0
		.amdhsa_kernarg_size 40
		.amdhsa_user_sgpr_count 6
		.amdhsa_user_sgpr_private_segment_buffer 1
		.amdhsa_user_sgpr_dispatch_ptr 0
		.amdhsa_user_sgpr_queue_ptr 0
		.amdhsa_user_sgpr_kernarg_segment_ptr 1
		.amdhsa_user_sgpr_dispatch_id 0
		.amdhsa_user_sgpr_flat_scratch_init 0
		.amdhsa_user_sgpr_private_segment_size 0
		.amdhsa_uses_dynamic_stack 0
		.amdhsa_system_sgpr_private_segment_wavefront_offset 0
		.amdhsa_system_sgpr_workgroup_id_x 1
		.amdhsa_system_sgpr_workgroup_id_y 0
		.amdhsa_system_sgpr_workgroup_id_z 0
		.amdhsa_system_sgpr_workgroup_info 0
		.amdhsa_system_vgpr_workitem_id 0
		.amdhsa_next_free_vgpr 11
		.amdhsa_next_free_sgpr 16
		.amdhsa_reserve_vcc 1
		.amdhsa_reserve_flat_scratch 0
		.amdhsa_float_round_mode_32 0
		.amdhsa_float_round_mode_16_64 0
		.amdhsa_float_denorm_mode_32 3
		.amdhsa_float_denorm_mode_16_64 3
		.amdhsa_dx10_clamp 1
		.amdhsa_ieee_mode 1
		.amdhsa_fp16_overflow 0
		.amdhsa_exception_fp_ieee_invalid_op 0
		.amdhsa_exception_fp_denorm_src 0
		.amdhsa_exception_fp_ieee_div_zero 0
		.amdhsa_exception_fp_ieee_overflow 0
		.amdhsa_exception_fp_ieee_underflow 0
		.amdhsa_exception_fp_ieee_inexact 0
		.amdhsa_exception_int_div_zero 0
	.end_amdhsa_kernel
	.section	.text._ZN9rocsparseL14nnz_kernel_colILi256Eii18rocsparse_bfloat16EEv16rocsparse_order_T1_S3_PKT2_lPT0_,"axG",@progbits,_ZN9rocsparseL14nnz_kernel_colILi256Eii18rocsparse_bfloat16EEv16rocsparse_order_T1_S3_PKT2_lPT0_,comdat
.Lfunc_end3:
	.size	_ZN9rocsparseL14nnz_kernel_colILi256Eii18rocsparse_bfloat16EEv16rocsparse_order_T1_S3_PKT2_lPT0_, .Lfunc_end3-_ZN9rocsparseL14nnz_kernel_colILi256Eii18rocsparse_bfloat16EEv16rocsparse_order_T1_S3_PKT2_lPT0_
                                        ; -- End function
	.set _ZN9rocsparseL14nnz_kernel_colILi256Eii18rocsparse_bfloat16EEv16rocsparse_order_T1_S3_PKT2_lPT0_.num_vgpr, 11
	.set _ZN9rocsparseL14nnz_kernel_colILi256Eii18rocsparse_bfloat16EEv16rocsparse_order_T1_S3_PKT2_lPT0_.num_agpr, 0
	.set _ZN9rocsparseL14nnz_kernel_colILi256Eii18rocsparse_bfloat16EEv16rocsparse_order_T1_S3_PKT2_lPT0_.numbered_sgpr, 16
	.set _ZN9rocsparseL14nnz_kernel_colILi256Eii18rocsparse_bfloat16EEv16rocsparse_order_T1_S3_PKT2_lPT0_.num_named_barrier, 0
	.set _ZN9rocsparseL14nnz_kernel_colILi256Eii18rocsparse_bfloat16EEv16rocsparse_order_T1_S3_PKT2_lPT0_.private_seg_size, 0
	.set _ZN9rocsparseL14nnz_kernel_colILi256Eii18rocsparse_bfloat16EEv16rocsparse_order_T1_S3_PKT2_lPT0_.uses_vcc, 1
	.set _ZN9rocsparseL14nnz_kernel_colILi256Eii18rocsparse_bfloat16EEv16rocsparse_order_T1_S3_PKT2_lPT0_.uses_flat_scratch, 0
	.set _ZN9rocsparseL14nnz_kernel_colILi256Eii18rocsparse_bfloat16EEv16rocsparse_order_T1_S3_PKT2_lPT0_.has_dyn_sized_stack, 0
	.set _ZN9rocsparseL14nnz_kernel_colILi256Eii18rocsparse_bfloat16EEv16rocsparse_order_T1_S3_PKT2_lPT0_.has_recursion, 0
	.set _ZN9rocsparseL14nnz_kernel_colILi256Eii18rocsparse_bfloat16EEv16rocsparse_order_T1_S3_PKT2_lPT0_.has_indirect_call, 0
	.section	.AMDGPU.csdata,"",@progbits
; Kernel info:
; codeLenInByte = 1336
; TotalNumSgprs: 20
; NumVgprs: 11
; ScratchSize: 0
; MemoryBound: 0
; FloatMode: 240
; IeeeMode: 1
; LDSByteSize: 1024 bytes/workgroup (compile time only)
; SGPRBlocks: 2
; VGPRBlocks: 2
; NumSGPRsForWavesPerEU: 20
; NumVGPRsForWavesPerEU: 11
; Occupancy: 10
; WaveLimiterHint : 0
; COMPUTE_PGM_RSRC2:SCRATCH_EN: 0
; COMPUTE_PGM_RSRC2:USER_SGPR: 6
; COMPUTE_PGM_RSRC2:TRAP_HANDLER: 0
; COMPUTE_PGM_RSRC2:TGID_X_EN: 1
; COMPUTE_PGM_RSRC2:TGID_Y_EN: 0
; COMPUTE_PGM_RSRC2:TGID_Z_EN: 0
; COMPUTE_PGM_RSRC2:TIDIG_COMP_CNT: 0
	.section	.text._ZN9rocsparseL14nnz_kernel_rowILi64ELi16EiifEEv16rocsparse_order_T2_S2_PKT3_lPT1_,"axG",@progbits,_ZN9rocsparseL14nnz_kernel_rowILi64ELi16EiifEEv16rocsparse_order_T2_S2_PKT3_lPT1_,comdat
	.globl	_ZN9rocsparseL14nnz_kernel_rowILi64ELi16EiifEEv16rocsparse_order_T2_S2_PKT3_lPT1_ ; -- Begin function _ZN9rocsparseL14nnz_kernel_rowILi64ELi16EiifEEv16rocsparse_order_T2_S2_PKT3_lPT1_
	.p2align	8
	.type	_ZN9rocsparseL14nnz_kernel_rowILi64ELi16EiifEEv16rocsparse_order_T2_S2_PKT3_lPT1_,@function
_ZN9rocsparseL14nnz_kernel_rowILi64ELi16EiifEEv16rocsparse_order_T2_S2_PKT3_lPT1_: ; @_ZN9rocsparseL14nnz_kernel_rowILi64ELi16EiifEEv16rocsparse_order_T2_S2_PKT3_lPT1_
; %bb.0:
	s_load_dword s0, s[4:5], 0x34
	s_load_dwordx2 s[10:11], s[4:5], 0x20
	s_load_dwordx8 s[12:19], s[4:5], 0x0
	s_waitcnt lgkmcnt(0)
	s_lshl_b32 s15, s6, 8
	s_and_b32 s0, s0, 0xffff
	v_mad_u32_u24 v14, v1, s0, v0
	s_ashr_i32 s0, s14, 31
	s_lshr_b32 s0, s0, 26
	v_and_b32_e32 v15, 63, v14
	s_add_i32 s33, s14, s0
	v_lshrrev_b32_e32 v0, 4, v14
	v_or_b32_e32 v10, s15, v15
	s_andn2_b32 s33, s33, 63
	v_and_b32_e32 v8, 0x7ffffc, v0
	v_mov_b32_e32 v0, 0
	v_cmp_gt_i32_e32 vcc, s33, v8
	v_mov_b32_e32 v1, v0
	v_mov_b32_e32 v2, v0
	;; [unrolled: 1-line block ×3, first 2 shown]
	v_or_b32_e32 v16, 64, v10
	s_and_saveexec_b64 s[20:21], vcc
	s_cbranch_execz .LBB4_28
; %bb.1:
	v_lshrrev_b32_e32 v13, 6, v14
	v_add_u32_e32 v1, s15, v15
	v_lshlrev_b32_e32 v21, 2, v13
	v_ashrrev_i32_e32 v2, 31, v1
	v_or_b32_e32 v11, 3, v21
	v_mul_lo_u32 v7, s18, v2
	v_mul_lo_u32 v9, s19, v1
	v_mad_u64_u32 v[3:4], s[0:1], s18, v1, 0
	v_mad_u64_u32 v[5:6], s[0:1], s18, v11, 0
	v_add3_u32 v4, v4, v7, v9
	v_mad_u64_u32 v[27:28], s[0:1], s18, v13, 0
	v_mad_u64_u32 v[6:7], s[0:1], s19, v11, v[6:7]
	v_or_b32_e32 v11, 2, v21
	v_mad_u64_u32 v[19:20], s[0:1], s18, v11, 0
	v_add_u32_e32 v7, 64, v1
	v_ashrrev_i32_e32 v9, 31, v7
	v_mul_lo_u32 v22, s19, v7
	v_mad_u64_u32 v[17:18], s[0:1], s18, v7, 0
	v_mov_b32_e32 v7, v20
	v_mad_u64_u32 v[11:12], s[0:1], s19, v11, v[7:8]
	v_mul_lo_u32 v9, s18, v9
	v_lshlrev_b64 v[3:4], 2, v[3:4]
	v_mov_b32_e32 v20, v11
	v_mov_b32_e32 v11, s18
	;; [unrolled: 1-line block ×3, first 2 shown]
	v_mad_u64_u32 v[23:24], s[0:1], s18, v21, v[11:12]
	v_add3_u32 v18, v18, v9, v22
	v_add_u32_e32 v9, 0x80, v1
	v_ashrrev_i32_e32 v7, 31, v9
	v_mul_lo_u32 v25, s18, v7
	v_mov_b32_e32 v7, v24
	v_mul_lo_u32 v26, s19, v9
	v_mad_u64_u32 v[11:12], s[0:1], s19, v21, v[7:8]
	v_mad_u64_u32 v[21:22], s[0:1], s18, v9, 0
	v_add_u32_e32 v7, 0xc0, v1
	v_ashrrev_i32_e32 v9, 31, v7
	v_add3_u32 v22, v22, v25, v26
	v_mov_b32_e32 v24, v11
	v_mul_lo_u32 v9, s18, v9
	v_mul_lo_u32 v11, s19, v7
	v_mad_u64_u32 v[25:26], s[0:1], s18, v7, 0
	v_mov_b32_e32 v7, v28
	v_lshlrev_b64 v[1:2], 2, v[1:2]
	v_add3_u32 v26, v26, v9, v11
	v_mad_u64_u32 v[11:12], s[0:1], s19, v13, v[7:8]
	v_or_b32_e32 v7, 0x80, v10
	v_cmp_gt_i32_e64 s[0:1], s13, v7
	v_or_b32_e32 v7, 0xc0, v10
	v_cmp_gt_i32_e64 s[2:3], s13, v7
	v_lshlrev_b32_e32 v7, 4, v13
	v_add_co_u32_e32 v9, vcc, v3, v7
	v_mov_b32_e32 v28, v11
	v_addc_co_u32_e32 v11, vcc, 0, v4, vcc
	v_lshlrev_b64 v[3:4], 2, v[5:6]
	s_cmp_lg_u32 s12, 1
	v_add_co_u32_e32 v12, vcc, v3, v1
	v_addc_co_u32_e32 v13, vcc, v4, v2, vcc
	v_lshlrev_b64 v[3:4], 2, v[17:18]
	s_cselect_b64 s[22:23], -1, 0
	v_add_co_u32_e32 v17, vcc, v3, v7
	v_addc_co_u32_e32 v18, vcc, 0, v4, vcc
	v_lshlrev_b64 v[3:4], 2, v[19:20]
	v_cmp_gt_i32_e64 s[4:5], s13, v10
	v_add_co_u32_e32 v19, vcc, v3, v1
	v_addc_co_u32_e32 v20, vcc, v4, v2, vcc
	v_lshlrev_b64 v[3:4], 2, v[21:22]
	v_cmp_gt_i32_e64 s[6:7], s13, v16
	v_add_co_u32_e32 v21, vcc, v3, v7
	v_addc_co_u32_e32 v22, vcc, 0, v4, vcc
	v_lshlrev_b64 v[3:4], 2, v[23:24]
	s_lshl_b64 s[24:25], s[18:19], 8
	v_add_co_u32_e32 v23, vcc, v3, v1
	v_addc_co_u32_e32 v24, vcc, v4, v2, vcc
	v_lshlrev_b64 v[3:4], 2, v[25:26]
	s_mov_b64 s[26:27], 0
	v_add_co_u32_e32 v25, vcc, v3, v7
	v_addc_co_u32_e32 v26, vcc, 0, v4, vcc
	v_lshlrev_b64 v[3:4], 4, v[27:28]
	v_add_co_u32_e32 v27, vcc, v3, v1
	v_addc_co_u32_e32 v28, vcc, v4, v2, vcc
	v_mov_b32_e32 v1, v0
	v_mov_b32_e32 v2, v0
	v_mov_b32_e32 v3, v0
	s_branch .LBB4_4
.LBB4_2:                                ;   in Loop: Header=BB4_4 Depth=1
	v_mov_b32_e32 v0, v4
	v_mov_b32_e32 v1, v5
	;; [unrolled: 1-line block ×4, first 2 shown]
.LBB4_3:                                ;   in Loop: Header=BB4_4 Depth=1
	s_or_b64 exec, exec, s[28:29]
	v_add_co_u32_e32 v9, vcc, 0x100, v9
	v_addc_co_u32_e32 v11, vcc, 0, v11, vcc
	v_mov_b32_e32 v4, s25
	v_add_co_u32_e32 v12, vcc, s24, v12
	v_addc_co_u32_e32 v13, vcc, v13, v4, vcc
	v_add_co_u32_e32 v17, vcc, 0x100, v17
	v_addc_co_u32_e32 v18, vcc, 0, v18, vcc
	;; [unrolled: 2-line block ×5, first 2 shown]
	v_add_co_u32_e32 v25, vcc, 0x100, v25
	v_add_u32_e32 v8, 64, v8
	v_addc_co_u32_e32 v26, vcc, 0, v26, vcc
	v_cmp_le_i32_e32 vcc, s33, v8
	s_or_b64 s[26:27], vcc, s[26:27]
	v_add_co_u32_e32 v27, vcc, s24, v27
	v_addc_co_u32_e32 v28, vcc, v28, v4, vcc
	s_andn2_b64 exec, exec, s[26:27]
	s_cbranch_execz .LBB4_27
.LBB4_4:                                ; =>This Inner Loop Header: Depth=1
	v_cndmask_b32_e64 v4, 0, 1, s[22:23]
	v_cmp_ne_u32_e64 s[8:9], 1, v4
	s_and_saveexec_b64 s[28:29], s[4:5]
	s_cbranch_execnz .LBB4_8
; %bb.5:                                ;   in Loop: Header=BB4_4 Depth=1
	s_or_b64 exec, exec, s[28:29]
	s_and_saveexec_b64 s[28:29], s[6:7]
	s_cbranch_execnz .LBB4_13
.LBB4_6:                                ;   in Loop: Header=BB4_4 Depth=1
	s_or_b64 exec, exec, s[28:29]
	s_and_saveexec_b64 s[28:29], s[0:1]
	s_cbranch_execnz .LBB4_18
.LBB4_7:                                ;   in Loop: Header=BB4_4 Depth=1
	s_or_b64 exec, exec, s[28:29]
	s_and_saveexec_b64 s[28:29], s[2:3]
	s_cbranch_execz .LBB4_3
	s_branch .LBB4_23
.LBB4_8:                                ;   in Loop: Header=BB4_4 Depth=1
	s_mov_b64 s[30:31], -1
	s_and_b64 vcc, exec, s[8:9]
	v_add_u32_e32 v29, 1, v0
                                        ; implicit-def: $vgpr4_vgpr5_vgpr6_vgpr7
	s_cbranch_vccnz .LBB4_10
; %bb.9:                                ;   in Loop: Header=BB4_4 Depth=1
	v_add_co_u32_e32 v4, vcc, s16, v9
	v_mov_b32_e32 v5, s17
	v_addc_co_u32_e32 v5, vcc, v5, v11, vcc
	global_load_dwordx4 v[4:7], v[4:5], off
	s_mov_b64 s[30:31], 0
	s_waitcnt vmcnt(0)
	v_cmp_neq_f32_e32 vcc, 0, v4
	v_cndmask_b32_e32 v4, v0, v29, vcc
	v_cmp_neq_f32_e32 vcc, 0, v5
	v_add_u32_e32 v5, 1, v4
	v_cndmask_b32_e32 v4, v4, v5, vcc
	v_cmp_neq_f32_e32 vcc, 0, v6
	v_add_u32_e32 v5, 1, v4
	;; [unrolled: 3-line block ×3, first 2 shown]
	v_cndmask_b32_e32 v4, v4, v5, vcc
	v_mov_b32_e32 v5, v1
	v_mov_b32_e32 v6, v2
	;; [unrolled: 1-line block ×3, first 2 shown]
.LBB4_10:                               ;   in Loop: Header=BB4_4 Depth=1
	s_andn2_b64 vcc, exec, s[30:31]
	s_cbranch_vccnz .LBB4_12
; %bb.11:                               ;   in Loop: Header=BB4_4 Depth=1
	v_mov_b32_e32 v5, s17
	v_add_co_u32_e32 v4, vcc, s16, v27
	v_addc_co_u32_e32 v5, vcc, v5, v28, vcc
	global_load_dword v30, v[4:5], off
	v_mov_b32_e32 v5, s17
	v_add_co_u32_e32 v4, vcc, s16, v23
	v_addc_co_u32_e32 v5, vcc, v5, v24, vcc
	v_mov_b32_e32 v7, s17
	v_add_co_u32_e32 v6, vcc, s16, v19
	v_addc_co_u32_e32 v7, vcc, v7, v20, vcc
	global_load_dword v31, v[4:5], off
	s_nop 0
	global_load_dword v6, v[6:7], off
	v_mov_b32_e32 v5, s17
	v_add_co_u32_e32 v4, vcc, s16, v12
	v_addc_co_u32_e32 v5, vcc, v5, v13, vcc
	global_load_dword v4, v[4:5], off
	s_waitcnt vmcnt(3)
	v_cmp_neq_f32_e32 vcc, 0, v30
	v_cndmask_b32_e32 v0, v0, v29, vcc
	v_add_u32_e32 v5, 1, v0
	s_waitcnt vmcnt(2)
	v_cmp_neq_f32_e32 vcc, 0, v31
	v_cndmask_b32_e32 v0, v0, v5, vcc
	v_add_u32_e32 v5, 1, v0
	;; [unrolled: 4-line block ×3, first 2 shown]
	s_waitcnt vmcnt(0)
	v_cmp_neq_f32_e32 vcc, 0, v4
	v_cndmask_b32_e32 v0, v0, v5, vcc
	v_mov_b32_e32 v7, v3
	v_mov_b32_e32 v6, v2
	;; [unrolled: 1-line block ×4, first 2 shown]
.LBB4_12:                               ;   in Loop: Header=BB4_4 Depth=1
	v_mov_b32_e32 v0, v4
	v_mov_b32_e32 v1, v5
	;; [unrolled: 1-line block ×4, first 2 shown]
	s_or_b64 exec, exec, s[28:29]
	s_and_saveexec_b64 s[28:29], s[6:7]
	s_cbranch_execz .LBB4_6
.LBB4_13:                               ;   in Loop: Header=BB4_4 Depth=1
	s_mov_b64 s[30:31], -1
	s_and_b64 vcc, exec, s[8:9]
	v_add_u32_e32 v29, 1, v1
                                        ; implicit-def: $vgpr4_vgpr5_vgpr6_vgpr7
	s_cbranch_vccnz .LBB4_15
; %bb.14:                               ;   in Loop: Header=BB4_4 Depth=1
	v_add_co_u32_e32 v4, vcc, s16, v17
	v_mov_b32_e32 v5, s17
	v_addc_co_u32_e32 v5, vcc, v5, v18, vcc
	global_load_dwordx4 v[4:7], v[4:5], off
	s_mov_b64 s[30:31], 0
	s_waitcnt vmcnt(0)
	v_cmp_neq_f32_e32 vcc, 0, v4
	v_cndmask_b32_e32 v4, v1, v29, vcc
	v_cmp_neq_f32_e32 vcc, 0, v5
	v_add_u32_e32 v5, 1, v4
	v_cndmask_b32_e32 v4, v4, v5, vcc
	v_cmp_neq_f32_e32 vcc, 0, v6
	v_add_u32_e32 v5, 1, v4
	;; [unrolled: 3-line block ×3, first 2 shown]
	v_cndmask_b32_e32 v5, v4, v5, vcc
	v_mov_b32_e32 v4, v0
	v_mov_b32_e32 v6, v2
	;; [unrolled: 1-line block ×3, first 2 shown]
.LBB4_15:                               ;   in Loop: Header=BB4_4 Depth=1
	s_andn2_b64 vcc, exec, s[30:31]
	s_cbranch_vccnz .LBB4_17
; %bb.16:                               ;   in Loop: Header=BB4_4 Depth=1
	v_mov_b32_e32 v5, s17
	v_add_co_u32_e32 v4, vcc, s16, v27
	v_addc_co_u32_e32 v5, vcc, v5, v28, vcc
	global_load_dword v30, v[4:5], off offset:256
	v_mov_b32_e32 v5, s17
	v_add_co_u32_e32 v4, vcc, s16, v23
	v_addc_co_u32_e32 v5, vcc, v5, v24, vcc
	v_mov_b32_e32 v7, s17
	v_add_co_u32_e32 v6, vcc, s16, v19
	v_addc_co_u32_e32 v7, vcc, v7, v20, vcc
	global_load_dword v31, v[4:5], off offset:256
	s_nop 0
	global_load_dword v6, v[6:7], off offset:256
	v_mov_b32_e32 v5, s17
	v_add_co_u32_e32 v4, vcc, s16, v12
	v_addc_co_u32_e32 v5, vcc, v5, v13, vcc
	global_load_dword v4, v[4:5], off offset:256
	s_waitcnt vmcnt(3)
	v_cmp_neq_f32_e32 vcc, 0, v30
	v_cndmask_b32_e32 v1, v1, v29, vcc
	v_add_u32_e32 v5, 1, v1
	s_waitcnt vmcnt(2)
	v_cmp_neq_f32_e32 vcc, 0, v31
	v_cndmask_b32_e32 v1, v1, v5, vcc
	v_add_u32_e32 v5, 1, v1
	;; [unrolled: 4-line block ×3, first 2 shown]
	s_waitcnt vmcnt(0)
	v_cmp_neq_f32_e32 vcc, 0, v4
	v_cndmask_b32_e32 v1, v1, v5, vcc
	v_mov_b32_e32 v7, v3
	v_mov_b32_e32 v6, v2
	;; [unrolled: 1-line block ×4, first 2 shown]
.LBB4_17:                               ;   in Loop: Header=BB4_4 Depth=1
	v_mov_b32_e32 v0, v4
	v_mov_b32_e32 v1, v5
	;; [unrolled: 1-line block ×4, first 2 shown]
	s_or_b64 exec, exec, s[28:29]
	s_and_saveexec_b64 s[28:29], s[0:1]
	s_cbranch_execz .LBB4_7
.LBB4_18:                               ;   in Loop: Header=BB4_4 Depth=1
	s_mov_b64 s[30:31], -1
	s_and_b64 vcc, exec, s[8:9]
	v_add_u32_e32 v29, 1, v2
                                        ; implicit-def: $vgpr4_vgpr5_vgpr6_vgpr7
	s_cbranch_vccnz .LBB4_20
; %bb.19:                               ;   in Loop: Header=BB4_4 Depth=1
	v_add_co_u32_e32 v4, vcc, s16, v21
	v_mov_b32_e32 v5, s17
	v_addc_co_u32_e32 v5, vcc, v5, v22, vcc
	global_load_dwordx4 v[4:7], v[4:5], off
	s_mov_b64 s[30:31], 0
	s_waitcnt vmcnt(0)
	v_cmp_neq_f32_e32 vcc, 0, v4
	v_cndmask_b32_e32 v4, v2, v29, vcc
	v_cmp_neq_f32_e32 vcc, 0, v5
	v_add_u32_e32 v5, 1, v4
	v_cndmask_b32_e32 v4, v4, v5, vcc
	v_cmp_neq_f32_e32 vcc, 0, v6
	v_add_u32_e32 v5, 1, v4
	;; [unrolled: 3-line block ×3, first 2 shown]
	v_cndmask_b32_e32 v6, v4, v5, vcc
	v_mov_b32_e32 v4, v0
	v_mov_b32_e32 v5, v1
	;; [unrolled: 1-line block ×3, first 2 shown]
.LBB4_20:                               ;   in Loop: Header=BB4_4 Depth=1
	s_andn2_b64 vcc, exec, s[30:31]
	s_cbranch_vccnz .LBB4_22
; %bb.21:                               ;   in Loop: Header=BB4_4 Depth=1
	v_mov_b32_e32 v5, s17
	v_add_co_u32_e32 v4, vcc, s16, v27
	v_addc_co_u32_e32 v5, vcc, v5, v28, vcc
	global_load_dword v30, v[4:5], off offset:512
	v_mov_b32_e32 v5, s17
	v_add_co_u32_e32 v4, vcc, s16, v23
	v_addc_co_u32_e32 v5, vcc, v5, v24, vcc
	v_mov_b32_e32 v7, s17
	v_add_co_u32_e32 v6, vcc, s16, v19
	v_addc_co_u32_e32 v7, vcc, v7, v20, vcc
	global_load_dword v31, v[4:5], off offset:512
	s_nop 0
	global_load_dword v6, v[6:7], off offset:512
	v_mov_b32_e32 v5, s17
	v_add_co_u32_e32 v4, vcc, s16, v12
	v_addc_co_u32_e32 v5, vcc, v5, v13, vcc
	global_load_dword v4, v[4:5], off offset:512
	s_waitcnt vmcnt(3)
	v_cmp_neq_f32_e32 vcc, 0, v30
	v_cndmask_b32_e32 v2, v2, v29, vcc
	v_add_u32_e32 v5, 1, v2
	s_waitcnt vmcnt(2)
	v_cmp_neq_f32_e32 vcc, 0, v31
	v_cndmask_b32_e32 v2, v2, v5, vcc
	v_add_u32_e32 v5, 1, v2
	;; [unrolled: 4-line block ×3, first 2 shown]
	s_waitcnt vmcnt(0)
	v_cmp_neq_f32_e32 vcc, 0, v4
	v_cndmask_b32_e32 v2, v2, v5, vcc
	v_mov_b32_e32 v7, v3
	v_mov_b32_e32 v6, v2
	v_mov_b32_e32 v5, v1
	v_mov_b32_e32 v4, v0
.LBB4_22:                               ;   in Loop: Header=BB4_4 Depth=1
	v_mov_b32_e32 v0, v4
	v_mov_b32_e32 v1, v5
	;; [unrolled: 1-line block ×4, first 2 shown]
	s_or_b64 exec, exec, s[28:29]
	s_and_saveexec_b64 s[28:29], s[2:3]
	s_cbranch_execz .LBB4_3
.LBB4_23:                               ;   in Loop: Header=BB4_4 Depth=1
	s_mov_b64 s[30:31], -1
	s_and_b64 vcc, exec, s[8:9]
	v_add_u32_e32 v29, 1, v3
                                        ; implicit-def: $vgpr4_vgpr5_vgpr6_vgpr7
	s_cbranch_vccnz .LBB4_25
; %bb.24:                               ;   in Loop: Header=BB4_4 Depth=1
	v_add_co_u32_e32 v4, vcc, s16, v25
	v_mov_b32_e32 v5, s17
	v_addc_co_u32_e32 v5, vcc, v5, v26, vcc
	global_load_dwordx4 v[4:7], v[4:5], off
	s_mov_b64 s[30:31], 0
	s_waitcnt vmcnt(0)
	v_cmp_neq_f32_e32 vcc, 0, v4
	v_cndmask_b32_e32 v4, v3, v29, vcc
	v_cmp_neq_f32_e32 vcc, 0, v5
	v_add_u32_e32 v5, 1, v4
	v_cndmask_b32_e32 v4, v4, v5, vcc
	v_cmp_neq_f32_e32 vcc, 0, v6
	v_add_u32_e32 v5, 1, v4
	;; [unrolled: 3-line block ×3, first 2 shown]
	v_cndmask_b32_e32 v7, v4, v5, vcc
	v_mov_b32_e32 v4, v0
	v_mov_b32_e32 v5, v1
	;; [unrolled: 1-line block ×3, first 2 shown]
.LBB4_25:                               ;   in Loop: Header=BB4_4 Depth=1
	s_andn2_b64 vcc, exec, s[30:31]
	s_cbranch_vccnz .LBB4_2
; %bb.26:                               ;   in Loop: Header=BB4_4 Depth=1
	v_mov_b32_e32 v5, s17
	v_add_co_u32_e32 v4, vcc, s16, v27
	v_addc_co_u32_e32 v5, vcc, v5, v28, vcc
	global_load_dword v30, v[4:5], off offset:768
	v_mov_b32_e32 v5, s17
	v_add_co_u32_e32 v4, vcc, s16, v23
	v_addc_co_u32_e32 v5, vcc, v5, v24, vcc
	v_mov_b32_e32 v7, s17
	v_add_co_u32_e32 v6, vcc, s16, v19
	v_addc_co_u32_e32 v7, vcc, v7, v20, vcc
	global_load_dword v31, v[4:5], off offset:768
	s_nop 0
	global_load_dword v6, v[6:7], off offset:768
	v_mov_b32_e32 v5, s17
	v_add_co_u32_e32 v4, vcc, s16, v12
	v_addc_co_u32_e32 v5, vcc, v5, v13, vcc
	global_load_dword v4, v[4:5], off offset:768
	s_waitcnt vmcnt(3)
	v_cmp_neq_f32_e32 vcc, 0, v30
	v_cndmask_b32_e32 v3, v3, v29, vcc
	v_add_u32_e32 v5, 1, v3
	s_waitcnt vmcnt(2)
	v_cmp_neq_f32_e32 vcc, 0, v31
	v_cndmask_b32_e32 v3, v3, v5, vcc
	v_add_u32_e32 v5, 1, v3
	;; [unrolled: 4-line block ×3, first 2 shown]
	s_waitcnt vmcnt(0)
	v_cmp_neq_f32_e32 vcc, 0, v4
	v_cndmask_b32_e32 v3, v3, v5, vcc
	v_mov_b32_e32 v7, v3
	v_mov_b32_e32 v6, v2
	;; [unrolled: 1-line block ×4, first 2 shown]
	s_branch .LBB4_2
.LBB4_27:
	s_or_b64 exec, exec, s[26:27]
.LBB4_28:
	s_or_b64 exec, exec, s[20:21]
	s_sub_i32 s0, s14, s33
	s_cmp_lt_i32 s0, 1
	s_cbranch_scc1 .LBB4_134
; %bb.29:
	v_mov_b32_e32 v9, 0
	v_lshlrev_b64 v[4:5], 2, v[8:9]
	v_mov_b32_e32 v6, s17
	v_add_co_u32_e32 v9, vcc, s16, v4
	s_cmp_lg_u32 s12, 1
	v_addc_co_u32_e32 v17, vcc, v6, v5, vcc
	s_cselect_b64 s[0:1], -1, 0
	v_cmp_gt_i32_e32 vcc, s13, v10
	v_ashrrev_i32_e32 v11, 31, v10
	s_and_saveexec_b64 s[2:3], vcc
	s_cbranch_execz .LBB4_55
; %bb.30:
	v_mul_lo_u32 v6, s19, v10
	v_mul_lo_u32 v7, s18, v11
	v_mad_u64_u32 v[4:5], s[4:5], s18, v10, 0
	v_add3_u32 v5, v5, v7, v6
	v_lshlrev_b64 v[4:5], 2, v[4:5]
	v_mov_b32_e32 v6, s17
	v_add_co_u32_e32 v12, vcc, v9, v4
	v_addc_co_u32_e32 v13, vcc, v17, v5, vcc
	v_lshlrev_b64 v[4:5], 2, v[10:11]
	v_add_co_u32_e32 v18, vcc, s16, v4
	v_addc_co_u32_e32 v19, vcc, v6, v5, vcc
	v_cmp_gt_i32_e32 vcc, s14, v8
	s_and_saveexec_b64 s[4:5], vcc
	s_cbranch_execz .LBB4_36
; %bb.31:
	s_and_b64 vcc, exec, s[0:1]
	s_cbranch_vccz .LBB4_33
; %bb.32:
	global_load_dword v20, v[12:13], off
	v_mov_b32_e32 v7, v3
	v_mov_b32_e32 v4, v0
	;; [unrolled: 1-line block ×4, first 2 shown]
	s_waitcnt vmcnt(0)
	v_cmp_neq_f32_e32 vcc, 0, v20
	v_addc_co_u32_e32 v4, vcc, 0, v0, vcc
	s_cbranch_execz .LBB4_34
	s_branch .LBB4_35
.LBB4_33:
                                        ; implicit-def: $vgpr4_vgpr5_vgpr6_vgpr7
.LBB4_34:
	v_mad_u64_u32 v[4:5], s[6:7], s18, v8, 0
	v_mad_u64_u32 v[5:6], s[6:7], s19, v8, v[5:6]
	v_lshlrev_b64 v[4:5], 2, v[4:5]
	v_add_co_u32_e32 v4, vcc, v18, v4
	v_addc_co_u32_e32 v5, vcc, v19, v5, vcc
	global_load_dword v4, v[4:5], off
	s_waitcnt vmcnt(0)
	v_cmp_neq_f32_e32 vcc, 0, v4
	v_addc_co_u32_e32 v0, vcc, 0, v0, vcc
	v_mov_b32_e32 v7, v3
	v_mov_b32_e32 v6, v2
	v_mov_b32_e32 v5, v1
	v_mov_b32_e32 v4, v0
.LBB4_35:
	v_mov_b32_e32 v0, v4
	v_mov_b32_e32 v1, v5
	;; [unrolled: 1-line block ×4, first 2 shown]
.LBB4_36:
	s_or_b64 exec, exec, s[4:5]
	v_or_b32_e32 v20, 1, v8
	v_cmp_gt_i32_e32 vcc, s14, v20
	s_and_saveexec_b64 s[4:5], vcc
	s_cbranch_execz .LBB4_42
; %bb.37:
	s_andn2_b64 vcc, exec, s[0:1]
	s_cbranch_vccnz .LBB4_39
; %bb.38:
	global_load_dword v21, v[12:13], off offset:4
	v_mov_b32_e32 v7, v3
	v_mov_b32_e32 v4, v0
	v_mov_b32_e32 v6, v2
	v_mov_b32_e32 v5, v1
	s_waitcnt vmcnt(0)
	v_cmp_neq_f32_e32 vcc, 0, v21
	v_addc_co_u32_e32 v4, vcc, 0, v0, vcc
	s_cbranch_execz .LBB4_40
	s_branch .LBB4_41
.LBB4_39:
                                        ; implicit-def: $vgpr4_vgpr5_vgpr6_vgpr7
.LBB4_40:
	v_mad_u64_u32 v[4:5], s[6:7], s18, v20, 0
	v_mad_u64_u32 v[5:6], s[6:7], s19, v20, v[5:6]
	v_lshlrev_b64 v[4:5], 2, v[4:5]
	v_add_co_u32_e32 v4, vcc, v18, v4
	v_addc_co_u32_e32 v5, vcc, v19, v5, vcc
	global_load_dword v4, v[4:5], off
	s_waitcnt vmcnt(0)
	v_cmp_neq_f32_e32 vcc, 0, v4
	v_addc_co_u32_e32 v0, vcc, 0, v0, vcc
	v_mov_b32_e32 v7, v3
	v_mov_b32_e32 v6, v2
	v_mov_b32_e32 v5, v1
	v_mov_b32_e32 v4, v0
.LBB4_41:
	v_mov_b32_e32 v0, v4
	v_mov_b32_e32 v1, v5
	v_mov_b32_e32 v2, v6
	v_mov_b32_e32 v3, v7
.LBB4_42:
	s_or_b64 exec, exec, s[4:5]
	v_or_b32_e32 v20, 2, v8
	v_cmp_gt_i32_e32 vcc, s14, v20
	s_and_saveexec_b64 s[4:5], vcc
	s_cbranch_execz .LBB4_48
; %bb.43:
	s_andn2_b64 vcc, exec, s[0:1]
	s_cbranch_vccnz .LBB4_45
; %bb.44:
	global_load_dword v21, v[12:13], off offset:8
	v_mov_b32_e32 v7, v3
	v_mov_b32_e32 v4, v0
	v_mov_b32_e32 v6, v2
	v_mov_b32_e32 v5, v1
	s_waitcnt vmcnt(0)
	v_cmp_neq_f32_e32 vcc, 0, v21
	v_addc_co_u32_e32 v4, vcc, 0, v0, vcc
	s_cbranch_execz .LBB4_46
	s_branch .LBB4_47
.LBB4_45:
                                        ; implicit-def: $vgpr4_vgpr5_vgpr6_vgpr7
.LBB4_46:
	v_mad_u64_u32 v[4:5], s[6:7], s18, v20, 0
	v_mad_u64_u32 v[5:6], s[6:7], s19, v20, v[5:6]
	v_lshlrev_b64 v[4:5], 2, v[4:5]
	v_add_co_u32_e32 v4, vcc, v18, v4
	v_addc_co_u32_e32 v5, vcc, v19, v5, vcc
	global_load_dword v4, v[4:5], off
	s_waitcnt vmcnt(0)
	v_cmp_neq_f32_e32 vcc, 0, v4
	v_addc_co_u32_e32 v0, vcc, 0, v0, vcc
	v_mov_b32_e32 v7, v3
	v_mov_b32_e32 v6, v2
	v_mov_b32_e32 v5, v1
	v_mov_b32_e32 v4, v0
.LBB4_47:
	v_mov_b32_e32 v0, v4
	v_mov_b32_e32 v1, v5
	v_mov_b32_e32 v2, v6
	v_mov_b32_e32 v3, v7
.LBB4_48:
	;; [unrolled: 41-line block ×3, first 2 shown]
	s_or_b64 exec, exec, s[4:5]
.LBB4_55:
	s_or_b64 exec, exec, s[2:3]
	v_cmp_gt_i32_e32 vcc, s13, v16
	s_and_saveexec_b64 s[2:3], vcc
	s_cbranch_execz .LBB4_81
; %bb.56:
	v_ashrrev_i32_e32 v6, 31, v16
	v_mul_lo_u32 v7, s19, v16
	v_mad_u64_u32 v[4:5], s[4:5], s18, v16, 0
	v_mul_lo_u32 v6, s18, v6
	v_add3_u32 v5, v5, v6, v7
	v_lshlrev_b64 v[4:5], 2, v[4:5]
	v_mov_b32_e32 v6, s17
	v_add_co_u32_e32 v12, vcc, v9, v4
	v_addc_co_u32_e32 v13, vcc, v17, v5, vcc
	v_lshlrev_b64 v[4:5], 2, v[10:11]
	v_add_co_u32_e32 v16, vcc, s16, v4
	v_addc_co_u32_e32 v18, vcc, v6, v5, vcc
	v_cmp_gt_i32_e32 vcc, s14, v8
	s_and_saveexec_b64 s[4:5], vcc
	s_cbranch_execz .LBB4_62
; %bb.57:
	s_andn2_b64 vcc, exec, s[0:1]
	s_cbranch_vccnz .LBB4_59
; %bb.58:
	global_load_dword v19, v[12:13], off
	v_mov_b32_e32 v7, v3
	v_mov_b32_e32 v5, v1
	;; [unrolled: 1-line block ×4, first 2 shown]
	s_waitcnt vmcnt(0)
	v_cmp_neq_f32_e32 vcc, 0, v19
	v_addc_co_u32_e32 v5, vcc, 0, v1, vcc
	s_cbranch_execz .LBB4_60
	s_branch .LBB4_61
.LBB4_59:
                                        ; implicit-def: $vgpr4_vgpr5_vgpr6_vgpr7
.LBB4_60:
	v_mad_u64_u32 v[4:5], s[6:7], s18, v8, 0
	v_mad_u64_u32 v[5:6], s[6:7], s19, v8, v[5:6]
	v_lshlrev_b64 v[4:5], 2, v[4:5]
	v_add_co_u32_e32 v4, vcc, v16, v4
	v_addc_co_u32_e32 v5, vcc, v18, v5, vcc
	global_load_dword v4, v[4:5], off offset:256
	s_waitcnt vmcnt(0)
	v_cmp_neq_f32_e32 vcc, 0, v4
	v_addc_co_u32_e32 v1, vcc, 0, v1, vcc
	v_mov_b32_e32 v7, v3
	v_mov_b32_e32 v6, v2
	;; [unrolled: 1-line block ×4, first 2 shown]
.LBB4_61:
	v_mov_b32_e32 v0, v4
	v_mov_b32_e32 v1, v5
	;; [unrolled: 1-line block ×4, first 2 shown]
.LBB4_62:
	s_or_b64 exec, exec, s[4:5]
	v_or_b32_e32 v19, 1, v8
	v_cmp_gt_i32_e32 vcc, s14, v19
	s_and_saveexec_b64 s[4:5], vcc
	s_cbranch_execz .LBB4_68
; %bb.63:
	s_andn2_b64 vcc, exec, s[0:1]
	s_cbranch_vccnz .LBB4_65
; %bb.64:
	global_load_dword v20, v[12:13], off offset:4
	v_mov_b32_e32 v7, v3
	v_mov_b32_e32 v5, v1
	v_mov_b32_e32 v6, v2
	v_mov_b32_e32 v4, v0
	s_waitcnt vmcnt(0)
	v_cmp_neq_f32_e32 vcc, 0, v20
	v_addc_co_u32_e32 v5, vcc, 0, v1, vcc
	s_cbranch_execz .LBB4_66
	s_branch .LBB4_67
.LBB4_65:
                                        ; implicit-def: $vgpr4_vgpr5_vgpr6_vgpr7
.LBB4_66:
	v_mad_u64_u32 v[4:5], s[6:7], s18, v19, 0
	v_mad_u64_u32 v[5:6], s[6:7], s19, v19, v[5:6]
	v_lshlrev_b64 v[4:5], 2, v[4:5]
	v_add_co_u32_e32 v4, vcc, v16, v4
	v_addc_co_u32_e32 v5, vcc, v18, v5, vcc
	global_load_dword v4, v[4:5], off offset:256
	s_waitcnt vmcnt(0)
	v_cmp_neq_f32_e32 vcc, 0, v4
	v_addc_co_u32_e32 v1, vcc, 0, v1, vcc
	v_mov_b32_e32 v7, v3
	v_mov_b32_e32 v6, v2
	v_mov_b32_e32 v5, v1
	v_mov_b32_e32 v4, v0
.LBB4_67:
	v_mov_b32_e32 v0, v4
	v_mov_b32_e32 v1, v5
	v_mov_b32_e32 v2, v6
	v_mov_b32_e32 v3, v7
.LBB4_68:
	s_or_b64 exec, exec, s[4:5]
	v_or_b32_e32 v19, 2, v8
	v_cmp_gt_i32_e32 vcc, s14, v19
	s_and_saveexec_b64 s[4:5], vcc
	s_cbranch_execz .LBB4_74
; %bb.69:
	s_andn2_b64 vcc, exec, s[0:1]
	s_cbranch_vccnz .LBB4_71
; %bb.70:
	global_load_dword v20, v[12:13], off offset:8
	v_mov_b32_e32 v7, v3
	v_mov_b32_e32 v5, v1
	v_mov_b32_e32 v6, v2
	v_mov_b32_e32 v4, v0
	s_waitcnt vmcnt(0)
	v_cmp_neq_f32_e32 vcc, 0, v20
	v_addc_co_u32_e32 v5, vcc, 0, v1, vcc
	s_cbranch_execz .LBB4_72
	s_branch .LBB4_73
.LBB4_71:
                                        ; implicit-def: $vgpr4_vgpr5_vgpr6_vgpr7
.LBB4_72:
	v_mad_u64_u32 v[4:5], s[6:7], s18, v19, 0
	v_mad_u64_u32 v[5:6], s[6:7], s19, v19, v[5:6]
	v_lshlrev_b64 v[4:5], 2, v[4:5]
	v_add_co_u32_e32 v4, vcc, v16, v4
	v_addc_co_u32_e32 v5, vcc, v18, v5, vcc
	global_load_dword v4, v[4:5], off offset:256
	s_waitcnt vmcnt(0)
	v_cmp_neq_f32_e32 vcc, 0, v4
	v_addc_co_u32_e32 v1, vcc, 0, v1, vcc
	v_mov_b32_e32 v7, v3
	v_mov_b32_e32 v6, v2
	v_mov_b32_e32 v5, v1
	v_mov_b32_e32 v4, v0
.LBB4_73:
	v_mov_b32_e32 v0, v4
	v_mov_b32_e32 v1, v5
	v_mov_b32_e32 v2, v6
	v_mov_b32_e32 v3, v7
.LBB4_74:
	s_or_b64 exec, exec, s[4:5]
	v_or_b32_e32 v19, 3, v8
	v_cmp_gt_i32_e32 vcc, s14, v19
	s_and_saveexec_b64 s[4:5], vcc
	s_cbranch_execz .LBB4_80
; %bb.75:
	s_andn2_b64 vcc, exec, s[0:1]
	s_cbranch_vccnz .LBB4_77
; %bb.76:
	global_load_dword v12, v[12:13], off offset:12
	v_mov_b32_e32 v7, v3
	v_mov_b32_e32 v5, v1
	v_mov_b32_e32 v6, v2
	v_mov_b32_e32 v4, v0
	s_waitcnt vmcnt(0)
	v_cmp_neq_f32_e32 vcc, 0, v12
	v_addc_co_u32_e32 v5, vcc, 0, v1, vcc
	s_cbranch_execz .LBB4_78
	s_branch .LBB4_79
.LBB4_77:
                                        ; implicit-def: $vgpr4_vgpr5_vgpr6_vgpr7
.LBB4_78:
	v_mad_u64_u32 v[4:5], s[6:7], s18, v19, 0
	v_mad_u64_u32 v[5:6], s[6:7], s19, v19, v[5:6]
	v_lshlrev_b64 v[4:5], 2, v[4:5]
	v_add_co_u32_e32 v4, vcc, v16, v4
	v_addc_co_u32_e32 v5, vcc, v18, v5, vcc
	global_load_dword v4, v[4:5], off offset:256
	s_waitcnt vmcnt(0)
	v_cmp_neq_f32_e32 vcc, 0, v4
	v_addc_co_u32_e32 v1, vcc, 0, v1, vcc
	v_mov_b32_e32 v7, v3
	v_mov_b32_e32 v6, v2
	v_mov_b32_e32 v5, v1
	v_mov_b32_e32 v4, v0
.LBB4_79:
	v_mov_b32_e32 v0, v4
	v_mov_b32_e32 v1, v5
	v_mov_b32_e32 v2, v6
	v_mov_b32_e32 v3, v7
.LBB4_80:
	s_or_b64 exec, exec, s[4:5]
.LBB4_81:
	s_or_b64 exec, exec, s[2:3]
	v_or_b32_e32 v4, 0x80, v10
	v_cmp_gt_i32_e32 vcc, s13, v4
	s_and_saveexec_b64 s[2:3], vcc
	s_cbranch_execz .LBB4_107
; %bb.82:
	v_ashrrev_i32_e32 v6, 31, v4
	v_mul_lo_u32 v7, s19, v4
	v_mad_u64_u32 v[4:5], s[4:5], s18, v4, 0
	v_mul_lo_u32 v6, s18, v6
	v_add3_u32 v5, v5, v6, v7
	v_lshlrev_b64 v[4:5], 2, v[4:5]
	v_mov_b32_e32 v6, s17
	v_add_co_u32_e32 v12, vcc, v9, v4
	v_addc_co_u32_e32 v13, vcc, v17, v5, vcc
	v_lshlrev_b64 v[4:5], 2, v[10:11]
	v_add_co_u32_e32 v16, vcc, s16, v4
	v_addc_co_u32_e32 v18, vcc, v6, v5, vcc
	v_cmp_gt_i32_e32 vcc, s14, v8
	s_and_saveexec_b64 s[4:5], vcc
	s_cbranch_execz .LBB4_88
; %bb.83:
	s_andn2_b64 vcc, exec, s[0:1]
	s_cbranch_vccnz .LBB4_85
; %bb.84:
	global_load_dword v19, v[12:13], off
	v_mov_b32_e32 v7, v3
	v_mov_b32_e32 v6, v2
	;; [unrolled: 1-line block ×4, first 2 shown]
	s_waitcnt vmcnt(0)
	v_cmp_neq_f32_e32 vcc, 0, v19
	v_addc_co_u32_e32 v6, vcc, 0, v2, vcc
	s_cbranch_execz .LBB4_86
	s_branch .LBB4_87
.LBB4_85:
                                        ; implicit-def: $vgpr4_vgpr5_vgpr6_vgpr7
.LBB4_86:
	v_mad_u64_u32 v[4:5], s[6:7], s18, v8, 0
	v_mad_u64_u32 v[5:6], s[6:7], s19, v8, v[5:6]
	v_lshlrev_b64 v[4:5], 2, v[4:5]
	v_add_co_u32_e32 v4, vcc, v16, v4
	v_addc_co_u32_e32 v5, vcc, v18, v5, vcc
	global_load_dword v4, v[4:5], off offset:512
	s_waitcnt vmcnt(0)
	v_cmp_neq_f32_e32 vcc, 0, v4
	v_addc_co_u32_e32 v2, vcc, 0, v2, vcc
	v_mov_b32_e32 v7, v3
	v_mov_b32_e32 v6, v2
	;; [unrolled: 1-line block ×4, first 2 shown]
.LBB4_87:
	v_mov_b32_e32 v0, v4
	v_mov_b32_e32 v1, v5
	;; [unrolled: 1-line block ×4, first 2 shown]
.LBB4_88:
	s_or_b64 exec, exec, s[4:5]
	v_or_b32_e32 v19, 1, v8
	v_cmp_gt_i32_e32 vcc, s14, v19
	s_and_saveexec_b64 s[4:5], vcc
	s_cbranch_execz .LBB4_94
; %bb.89:
	s_andn2_b64 vcc, exec, s[0:1]
	s_cbranch_vccnz .LBB4_91
; %bb.90:
	global_load_dword v20, v[12:13], off offset:4
	v_mov_b32_e32 v7, v3
	v_mov_b32_e32 v6, v2
	v_mov_b32_e32 v5, v1
	v_mov_b32_e32 v4, v0
	s_waitcnt vmcnt(0)
	v_cmp_neq_f32_e32 vcc, 0, v20
	v_addc_co_u32_e32 v6, vcc, 0, v2, vcc
	s_cbranch_execz .LBB4_92
	s_branch .LBB4_93
.LBB4_91:
                                        ; implicit-def: $vgpr4_vgpr5_vgpr6_vgpr7
.LBB4_92:
	v_mad_u64_u32 v[4:5], s[6:7], s18, v19, 0
	v_mad_u64_u32 v[5:6], s[6:7], s19, v19, v[5:6]
	v_lshlrev_b64 v[4:5], 2, v[4:5]
	v_add_co_u32_e32 v4, vcc, v16, v4
	v_addc_co_u32_e32 v5, vcc, v18, v5, vcc
	global_load_dword v4, v[4:5], off offset:512
	s_waitcnt vmcnt(0)
	v_cmp_neq_f32_e32 vcc, 0, v4
	v_addc_co_u32_e32 v2, vcc, 0, v2, vcc
	v_mov_b32_e32 v7, v3
	v_mov_b32_e32 v6, v2
	v_mov_b32_e32 v5, v1
	v_mov_b32_e32 v4, v0
.LBB4_93:
	v_mov_b32_e32 v0, v4
	v_mov_b32_e32 v1, v5
	v_mov_b32_e32 v2, v6
	v_mov_b32_e32 v3, v7
.LBB4_94:
	s_or_b64 exec, exec, s[4:5]
	v_or_b32_e32 v19, 2, v8
	v_cmp_gt_i32_e32 vcc, s14, v19
	s_and_saveexec_b64 s[4:5], vcc
	s_cbranch_execz .LBB4_100
; %bb.95:
	s_andn2_b64 vcc, exec, s[0:1]
	s_cbranch_vccnz .LBB4_97
; %bb.96:
	global_load_dword v20, v[12:13], off offset:8
	v_mov_b32_e32 v7, v3
	v_mov_b32_e32 v6, v2
	v_mov_b32_e32 v5, v1
	v_mov_b32_e32 v4, v0
	s_waitcnt vmcnt(0)
	v_cmp_neq_f32_e32 vcc, 0, v20
	v_addc_co_u32_e32 v6, vcc, 0, v2, vcc
	s_cbranch_execz .LBB4_98
	s_branch .LBB4_99
.LBB4_97:
                                        ; implicit-def: $vgpr4_vgpr5_vgpr6_vgpr7
.LBB4_98:
	v_mad_u64_u32 v[4:5], s[6:7], s18, v19, 0
	v_mad_u64_u32 v[5:6], s[6:7], s19, v19, v[5:6]
	v_lshlrev_b64 v[4:5], 2, v[4:5]
	v_add_co_u32_e32 v4, vcc, v16, v4
	v_addc_co_u32_e32 v5, vcc, v18, v5, vcc
	global_load_dword v4, v[4:5], off offset:512
	s_waitcnt vmcnt(0)
	v_cmp_neq_f32_e32 vcc, 0, v4
	v_addc_co_u32_e32 v2, vcc, 0, v2, vcc
	v_mov_b32_e32 v7, v3
	v_mov_b32_e32 v6, v2
	v_mov_b32_e32 v5, v1
	v_mov_b32_e32 v4, v0
.LBB4_99:
	v_mov_b32_e32 v0, v4
	v_mov_b32_e32 v1, v5
	v_mov_b32_e32 v2, v6
	v_mov_b32_e32 v3, v7
.LBB4_100:
	;; [unrolled: 41-line block ×3, first 2 shown]
	s_or_b64 exec, exec, s[4:5]
.LBB4_107:
	s_or_b64 exec, exec, s[2:3]
	v_or_b32_e32 v4, 0xc0, v10
	v_cmp_gt_i32_e32 vcc, s13, v4
	s_and_saveexec_b64 s[2:3], vcc
	s_cbranch_execz .LBB4_133
; %bb.108:
	v_ashrrev_i32_e32 v6, 31, v4
	v_mul_lo_u32 v7, s19, v4
	v_mad_u64_u32 v[4:5], s[4:5], s18, v4, 0
	v_mul_lo_u32 v6, s18, v6
	v_add3_u32 v5, v5, v6, v7
	v_lshlrev_b64 v[4:5], 2, v[4:5]
	v_mov_b32_e32 v6, s17
	v_add_co_u32_e32 v12, vcc, v9, v4
	v_addc_co_u32_e32 v13, vcc, v17, v5, vcc
	v_lshlrev_b64 v[4:5], 2, v[10:11]
	v_add_co_u32_e32 v9, vcc, s16, v4
	v_addc_co_u32_e32 v10, vcc, v6, v5, vcc
	v_cndmask_b32_e64 v4, 0, 1, s[0:1]
	v_cmp_gt_i32_e32 vcc, s14, v8
	v_cmp_ne_u32_e64 s[0:1], 1, v4
	s_and_saveexec_b64 s[4:5], vcc
	s_cbranch_execz .LBB4_114
; %bb.109:
	s_and_b64 vcc, exec, s[0:1]
	s_cbranch_vccnz .LBB4_111
; %bb.110:
	global_load_dword v11, v[12:13], off
	v_mov_b32_e32 v7, v3
	v_mov_b32_e32 v6, v2
	;; [unrolled: 1-line block ×4, first 2 shown]
	s_waitcnt vmcnt(0)
	v_cmp_neq_f32_e32 vcc, 0, v11
	v_addc_co_u32_e32 v7, vcc, 0, v3, vcc
	s_cbranch_execz .LBB4_112
	s_branch .LBB4_113
.LBB4_111:
                                        ; implicit-def: $vgpr4_vgpr5_vgpr6_vgpr7
.LBB4_112:
	v_mad_u64_u32 v[4:5], s[6:7], s18, v8, 0
	v_mad_u64_u32 v[5:6], s[6:7], s19, v8, v[5:6]
	v_lshlrev_b64 v[4:5], 2, v[4:5]
	v_add_co_u32_e32 v4, vcc, v9, v4
	v_addc_co_u32_e32 v5, vcc, v10, v5, vcc
	global_load_dword v4, v[4:5], off offset:768
	s_waitcnt vmcnt(0)
	v_cmp_neq_f32_e32 vcc, 0, v4
	v_addc_co_u32_e32 v3, vcc, 0, v3, vcc
	v_mov_b32_e32 v7, v3
	v_mov_b32_e32 v6, v2
	;; [unrolled: 1-line block ×4, first 2 shown]
.LBB4_113:
	v_mov_b32_e32 v0, v4
	v_mov_b32_e32 v1, v5
	;; [unrolled: 1-line block ×4, first 2 shown]
.LBB4_114:
	s_or_b64 exec, exec, s[4:5]
	v_or_b32_e32 v11, 1, v8
	v_cmp_gt_i32_e32 vcc, s14, v11
	s_and_saveexec_b64 s[4:5], vcc
	s_cbranch_execz .LBB4_120
; %bb.115:
	s_and_b64 vcc, exec, s[0:1]
	s_cbranch_vccnz .LBB4_117
; %bb.116:
	global_load_dword v16, v[12:13], off offset:4
	v_mov_b32_e32 v7, v3
	v_mov_b32_e32 v6, v2
	v_mov_b32_e32 v5, v1
	v_mov_b32_e32 v4, v0
	s_waitcnt vmcnt(0)
	v_cmp_neq_f32_e32 vcc, 0, v16
	v_addc_co_u32_e32 v7, vcc, 0, v3, vcc
	s_cbranch_execz .LBB4_118
	s_branch .LBB4_119
.LBB4_117:
                                        ; implicit-def: $vgpr4_vgpr5_vgpr6_vgpr7
.LBB4_118:
	v_mad_u64_u32 v[4:5], s[6:7], s18, v11, 0
	v_mad_u64_u32 v[5:6], s[6:7], s19, v11, v[5:6]
	v_lshlrev_b64 v[4:5], 2, v[4:5]
	v_add_co_u32_e32 v4, vcc, v9, v4
	v_addc_co_u32_e32 v5, vcc, v10, v5, vcc
	global_load_dword v4, v[4:5], off offset:768
	s_waitcnt vmcnt(0)
	v_cmp_neq_f32_e32 vcc, 0, v4
	v_addc_co_u32_e32 v3, vcc, 0, v3, vcc
	v_mov_b32_e32 v7, v3
	v_mov_b32_e32 v6, v2
	v_mov_b32_e32 v5, v1
	v_mov_b32_e32 v4, v0
.LBB4_119:
	v_mov_b32_e32 v0, v4
	v_mov_b32_e32 v1, v5
	v_mov_b32_e32 v2, v6
	v_mov_b32_e32 v3, v7
.LBB4_120:
	s_or_b64 exec, exec, s[4:5]
	v_or_b32_e32 v11, 2, v8
	v_cmp_gt_i32_e32 vcc, s14, v11
	s_and_saveexec_b64 s[4:5], vcc
	s_cbranch_execz .LBB4_126
; %bb.121:
	s_and_b64 vcc, exec, s[0:1]
	s_cbranch_vccnz .LBB4_123
; %bb.122:
	global_load_dword v16, v[12:13], off offset:8
	v_mov_b32_e32 v7, v3
	v_mov_b32_e32 v6, v2
	v_mov_b32_e32 v5, v1
	v_mov_b32_e32 v4, v0
	s_waitcnt vmcnt(0)
	v_cmp_neq_f32_e32 vcc, 0, v16
	v_addc_co_u32_e32 v7, vcc, 0, v3, vcc
	s_cbranch_execz .LBB4_124
	s_branch .LBB4_125
.LBB4_123:
                                        ; implicit-def: $vgpr4_vgpr5_vgpr6_vgpr7
.LBB4_124:
	v_mad_u64_u32 v[4:5], s[6:7], s18, v11, 0
	v_mad_u64_u32 v[5:6], s[6:7], s19, v11, v[5:6]
	v_lshlrev_b64 v[4:5], 2, v[4:5]
	v_add_co_u32_e32 v4, vcc, v9, v4
	v_addc_co_u32_e32 v5, vcc, v10, v5, vcc
	global_load_dword v4, v[4:5], off offset:768
	s_waitcnt vmcnt(0)
	v_cmp_neq_f32_e32 vcc, 0, v4
	v_addc_co_u32_e32 v3, vcc, 0, v3, vcc
	v_mov_b32_e32 v7, v3
	v_mov_b32_e32 v6, v2
	v_mov_b32_e32 v5, v1
	v_mov_b32_e32 v4, v0
.LBB4_125:
	v_mov_b32_e32 v0, v4
	v_mov_b32_e32 v1, v5
	v_mov_b32_e32 v2, v6
	v_mov_b32_e32 v3, v7
.LBB4_126:
	;; [unrolled: 41-line block ×3, first 2 shown]
	s_or_b64 exec, exec, s[4:5]
.LBB4_133:
	s_or_b64 exec, exec, s[2:3]
.LBB4_134:
	v_lshlrev_b32_e32 v4, 4, v14
	v_lshlrev_b32_e32 v5, 2, v15
	s_mov_b32 s0, 0x7ffffc00
	v_and_or_b32 v4, v4, s0, v5
	s_movk_i32 s0, 0x100
	v_cmp_gt_u32_e32 vcc, s0, v14
	ds_write2st64_b32 v4, v0, v1 offset1:1
	ds_write2st64_b32 v4, v2, v3 offset0:2 offset1:3
	s_waitcnt lgkmcnt(0)
	s_barrier
	s_and_saveexec_b64 s[0:1], vcc
	s_cbranch_execz .LBB4_137
; %bb.135:
	v_lshlrev_b32_e32 v11, 2, v14
	ds_read2st64_b32 v[1:2], v11 offset1:4
	ds_read2st64_b32 v[3:4], v11 offset0:8 offset1:12
	ds_read2st64_b32 v[5:6], v11 offset0:16 offset1:20
	;; [unrolled: 1-line block ×3, first 2 shown]
	v_add_u32_e32 v0, s15, v14
	s_waitcnt lgkmcnt(3)
	v_add_u32_e32 v1, v1, v2
	s_waitcnt lgkmcnt(2)
	v_add3_u32 v1, v1, v3, v4
	s_waitcnt lgkmcnt(1)
	v_add3_u32 v12, v1, v5, v6
	ds_read2st64_b32 v[1:2], v11 offset0:32 offset1:36
	ds_read2st64_b32 v[3:4], v11 offset0:40 offset1:44
	;; [unrolled: 1-line block ×4, first 2 shown]
	s_waitcnt lgkmcnt(4)
	v_add3_u32 v7, v12, v7, v8
	s_waitcnt lgkmcnt(3)
	v_add3_u32 v1, v7, v1, v2
	;; [unrolled: 2-line block ×5, first 2 shown]
	v_cmp_gt_i32_e32 vcc, s13, v0
	ds_write_b32 v11, v2
	s_and_b64 exec, exec, vcc
	s_cbranch_execz .LBB4_137
; %bb.136:
	v_ashrrev_i32_e32 v1, 31, v0
	v_lshlrev_b64 v[0:1], 2, v[0:1]
	v_mov_b32_e32 v3, s11
	v_add_co_u32_e32 v0, vcc, s10, v0
	v_addc_co_u32_e32 v1, vcc, v3, v1, vcc
	global_store_dword v[0:1], v2, off
.LBB4_137:
	s_endpgm
	.section	.rodata,"a",@progbits
	.p2align	6, 0x0
	.amdhsa_kernel _ZN9rocsparseL14nnz_kernel_rowILi64ELi16EiifEEv16rocsparse_order_T2_S2_PKT3_lPT1_
		.amdhsa_group_segment_fixed_size 16384
		.amdhsa_private_segment_fixed_size 0
		.amdhsa_kernarg_size 296
		.amdhsa_user_sgpr_count 6
		.amdhsa_user_sgpr_private_segment_buffer 1
		.amdhsa_user_sgpr_dispatch_ptr 0
		.amdhsa_user_sgpr_queue_ptr 0
		.amdhsa_user_sgpr_kernarg_segment_ptr 1
		.amdhsa_user_sgpr_dispatch_id 0
		.amdhsa_user_sgpr_flat_scratch_init 0
		.amdhsa_user_sgpr_private_segment_size 0
		.amdhsa_uses_dynamic_stack 0
		.amdhsa_system_sgpr_private_segment_wavefront_offset 0
		.amdhsa_system_sgpr_workgroup_id_x 1
		.amdhsa_system_sgpr_workgroup_id_y 0
		.amdhsa_system_sgpr_workgroup_id_z 0
		.amdhsa_system_sgpr_workgroup_info 0
		.amdhsa_system_vgpr_workitem_id 1
		.amdhsa_next_free_vgpr 32
		.amdhsa_next_free_sgpr 61
		.amdhsa_reserve_vcc 1
		.amdhsa_reserve_flat_scratch 0
		.amdhsa_float_round_mode_32 0
		.amdhsa_float_round_mode_16_64 0
		.amdhsa_float_denorm_mode_32 3
		.amdhsa_float_denorm_mode_16_64 3
		.amdhsa_dx10_clamp 1
		.amdhsa_ieee_mode 1
		.amdhsa_fp16_overflow 0
		.amdhsa_exception_fp_ieee_invalid_op 0
		.amdhsa_exception_fp_denorm_src 0
		.amdhsa_exception_fp_ieee_div_zero 0
		.amdhsa_exception_fp_ieee_overflow 0
		.amdhsa_exception_fp_ieee_underflow 0
		.amdhsa_exception_fp_ieee_inexact 0
		.amdhsa_exception_int_div_zero 0
	.end_amdhsa_kernel
	.section	.text._ZN9rocsparseL14nnz_kernel_rowILi64ELi16EiifEEv16rocsparse_order_T2_S2_PKT3_lPT1_,"axG",@progbits,_ZN9rocsparseL14nnz_kernel_rowILi64ELi16EiifEEv16rocsparse_order_T2_S2_PKT3_lPT1_,comdat
.Lfunc_end4:
	.size	_ZN9rocsparseL14nnz_kernel_rowILi64ELi16EiifEEv16rocsparse_order_T2_S2_PKT3_lPT1_, .Lfunc_end4-_ZN9rocsparseL14nnz_kernel_rowILi64ELi16EiifEEv16rocsparse_order_T2_S2_PKT3_lPT1_
                                        ; -- End function
	.set _ZN9rocsparseL14nnz_kernel_rowILi64ELi16EiifEEv16rocsparse_order_T2_S2_PKT3_lPT1_.num_vgpr, 32
	.set _ZN9rocsparseL14nnz_kernel_rowILi64ELi16EiifEEv16rocsparse_order_T2_S2_PKT3_lPT1_.num_agpr, 0
	.set _ZN9rocsparseL14nnz_kernel_rowILi64ELi16EiifEEv16rocsparse_order_T2_S2_PKT3_lPT1_.numbered_sgpr, 34
	.set _ZN9rocsparseL14nnz_kernel_rowILi64ELi16EiifEEv16rocsparse_order_T2_S2_PKT3_lPT1_.num_named_barrier, 0
	.set _ZN9rocsparseL14nnz_kernel_rowILi64ELi16EiifEEv16rocsparse_order_T2_S2_PKT3_lPT1_.private_seg_size, 0
	.set _ZN9rocsparseL14nnz_kernel_rowILi64ELi16EiifEEv16rocsparse_order_T2_S2_PKT3_lPT1_.uses_vcc, 1
	.set _ZN9rocsparseL14nnz_kernel_rowILi64ELi16EiifEEv16rocsparse_order_T2_S2_PKT3_lPT1_.uses_flat_scratch, 0
	.set _ZN9rocsparseL14nnz_kernel_rowILi64ELi16EiifEEv16rocsparse_order_T2_S2_PKT3_lPT1_.has_dyn_sized_stack, 0
	.set _ZN9rocsparseL14nnz_kernel_rowILi64ELi16EiifEEv16rocsparse_order_T2_S2_PKT3_lPT1_.has_recursion, 0
	.set _ZN9rocsparseL14nnz_kernel_rowILi64ELi16EiifEEv16rocsparse_order_T2_S2_PKT3_lPT1_.has_indirect_call, 0
	.section	.AMDGPU.csdata,"",@progbits
; Kernel info:
; codeLenInByte = 5164
; TotalNumSgprs: 38
; NumVgprs: 32
; ScratchSize: 0
; MemoryBound: 0
; FloatMode: 240
; IeeeMode: 1
; LDSByteSize: 16384 bytes/workgroup (compile time only)
; SGPRBlocks: 8
; VGPRBlocks: 7
; NumSGPRsForWavesPerEU: 65
; NumVGPRsForWavesPerEU: 32
; Occupancy: 8
; WaveLimiterHint : 0
; COMPUTE_PGM_RSRC2:SCRATCH_EN: 0
; COMPUTE_PGM_RSRC2:USER_SGPR: 6
; COMPUTE_PGM_RSRC2:TRAP_HANDLER: 0
; COMPUTE_PGM_RSRC2:TGID_X_EN: 1
; COMPUTE_PGM_RSRC2:TGID_Y_EN: 0
; COMPUTE_PGM_RSRC2:TGID_Z_EN: 0
; COMPUTE_PGM_RSRC2:TIDIG_COMP_CNT: 1
	.section	.text._ZN9rocsparseL14nnz_kernel_colILi256EiifEEv16rocsparse_order_T1_S2_PKT2_lPT0_,"axG",@progbits,_ZN9rocsparseL14nnz_kernel_colILi256EiifEEv16rocsparse_order_T1_S2_PKT2_lPT0_,comdat
	.globl	_ZN9rocsparseL14nnz_kernel_colILi256EiifEEv16rocsparse_order_T1_S2_PKT2_lPT0_ ; -- Begin function _ZN9rocsparseL14nnz_kernel_colILi256EiifEEv16rocsparse_order_T1_S2_PKT2_lPT0_
	.p2align	8
	.type	_ZN9rocsparseL14nnz_kernel_colILi256EiifEEv16rocsparse_order_T1_S2_PKT2_lPT0_,@function
_ZN9rocsparseL14nnz_kernel_colILi256EiifEEv16rocsparse_order_T1_S2_PKT2_lPT0_: ; @_ZN9rocsparseL14nnz_kernel_colILi256EiifEEv16rocsparse_order_T1_S2_PKT2_lPT0_
; %bb.0:
	s_load_dwordx2 s[8:9], s[4:5], 0x0
	s_load_dwordx4 s[0:3], s[4:5], 0x10
	s_waitcnt lgkmcnt(0)
	s_ashr_i32 s7, s9, 31
	s_lshr_b32 s7, s7, 24
	s_add_i32 s7, s9, s7
	s_and_b32 s10, s7, 0xffffff00
	s_cmp_eq_u32 s8, 1
	s_cbranch_scc1 .LBB5_6
; %bb.1:
	s_cmpk_lt_i32 s9, 0x100
	v_mov_b32_e32 v5, 0
	s_cbranch_scc1 .LBB5_7
; %bb.2:
	v_mad_u64_u32 v[1:2], s[12:13], s2, v0, 0
	s_ashr_i32 s7, s6, 31
	v_mov_b32_e32 v5, 0
	v_mad_u64_u32 v[2:3], s[12:13], s3, v0, v[2:3]
	s_lshl_b64 s[12:13], s[6:7], 2
	s_add_u32 s7, s0, s12
	v_lshlrev_b64 v[1:2], 2, v[1:2]
	s_addc_u32 s8, s1, s13
	v_mov_b32_e32 v3, s8
	v_add_co_u32_e32 v1, vcc, s7, v1
	s_lshl_b64 s[12:13], s[2:3], 10
	v_addc_co_u32_e32 v2, vcc, v3, v2, vcc
	s_mov_b32 s7, 0
	v_mov_b32_e32 v3, s13
	s_branch .LBB5_4
.LBB5_3:                                ;   in Loop: Header=BB5_4 Depth=1
	s_or_b64 exec, exec, s[14:15]
	s_addk_i32 s7, 0x100
	v_add_co_u32_e32 v1, vcc, s12, v1
	s_cmp_ge_i32 s7, s10
	v_addc_co_u32_e32 v2, vcc, v2, v3, vcc
	s_cbranch_scc1 .LBB5_7
.LBB5_4:                                ; =>This Inner Loop Header: Depth=1
	v_add_u32_e32 v4, s7, v0
	v_cmp_gt_i32_e32 vcc, s9, v4
	s_and_saveexec_b64 s[14:15], vcc
	s_cbranch_execz .LBB5_3
; %bb.5:                                ;   in Loop: Header=BB5_4 Depth=1
	global_load_dword v4, v[1:2], off
	s_waitcnt vmcnt(0)
	v_cmp_neq_f32_e32 vcc, 0, v4
	v_addc_co_u32_e32 v5, vcc, 0, v5, vcc
	s_branch .LBB5_3
.LBB5_6:
                                        ; implicit-def: $vgpr5
	s_load_dwordx2 s[4:5], s[4:5], 0x20
	s_cbranch_execnz .LBB5_10
	s_branch .LBB5_16
.LBB5_7:
	v_add_u32_e32 v1, s10, v0
	v_cmp_gt_i32_e32 vcc, s9, v1
	s_and_saveexec_b64 s[12:13], vcc
	s_cbranch_execz .LBB5_9
; %bb.8:
	v_ashrrev_i32_e32 v2, 31, v1
	v_mul_lo_u32 v3, s3, v1
	v_mul_lo_u32 v4, s2, v2
	v_mad_u64_u32 v[1:2], s[14:15], s2, v1, 0
	s_ashr_i32 s7, s6, 31
	s_lshl_b64 s[14:15], s[6:7], 2
	v_add3_u32 v2, v2, v4, v3
	v_lshlrev_b64 v[1:2], 2, v[1:2]
	v_mov_b32_e32 v3, s1
	v_add_co_u32_e32 v1, vcc, s0, v1
	v_addc_co_u32_e32 v2, vcc, v3, v2, vcc
	v_mov_b32_e32 v3, s15
	v_add_co_u32_e32 v1, vcc, s14, v1
	v_addc_co_u32_e32 v2, vcc, v2, v3, vcc
	global_load_dword v1, v[1:2], off
	s_waitcnt vmcnt(0)
	v_cmp_neq_f32_e32 vcc, 0, v1
	v_addc_co_u32_e32 v5, vcc, 0, v5, vcc
.LBB5_9:
	s_or_b64 exec, exec, s[12:13]
	s_load_dwordx2 s[4:5], s[4:5], 0x20
	s_branch .LBB5_16
.LBB5_10:
	s_ashr_i32 s7, s6, 31
	s_mul_hi_u32 s8, s2, s6
	s_mul_i32 s7, s2, s7
	s_add_i32 s7, s8, s7
	s_mul_i32 s3, s3, s6
	s_add_i32 s3, s7, s3
	s_mul_i32 s2, s2, s6
	v_cmp_gt_i32_e32 vcc, s9, v0
	s_lshl_b64 s[2:3], s[2:3], 2
	v_cndmask_b32_e32 v1, 0, v0, vcc
	s_add_u32 s0, s0, s2
	s_addc_u32 s1, s1, s3
	v_lshlrev_b32_e32 v1, 2, v1
	v_mov_b32_e32 v2, s1
	v_add_co_u32_e32 v1, vcc, s0, v1
	v_mov_b32_e32 v5, 0
	s_cmpk_lt_i32 s9, 0x100
	v_addc_co_u32_e32 v2, vcc, 0, v2, vcc
	s_cbranch_scc1 .LBB5_13
; %bb.11:
	v_mov_b32_e32 v4, v2
	s_mov_b32 s0, 0
	v_mov_b32_e32 v5, 0
	v_mov_b32_e32 v3, v1
.LBB5_12:                               ; =>This Inner Loop Header: Depth=1
	global_load_dword v6, v[3:4], off
	v_add_co_u32_e32 v3, vcc, 0x400, v3
	v_addc_co_u32_e32 v4, vcc, 0, v4, vcc
	s_addk_i32 s0, 0x100
	s_cmp_ge_i32 s0, s10
	s_waitcnt vmcnt(0)
	v_cmp_neq_f32_e32 vcc, 0, v6
	v_addc_co_u32_e32 v5, vcc, 0, v5, vcc
	s_cbranch_scc0 .LBB5_12
.LBB5_13:
	v_add_u32_e32 v3, s10, v0
	v_cmp_gt_i32_e32 vcc, s9, v3
	s_and_saveexec_b64 s[0:1], vcc
	s_cbranch_execz .LBB5_15
; %bb.14:
	s_ashr_i32 s11, s10, 31
	s_lshl_b64 s[2:3], s[10:11], 2
	v_mov_b32_e32 v3, s3
	v_add_co_u32_e32 v1, vcc, s2, v1
	v_addc_co_u32_e32 v2, vcc, v2, v3, vcc
	global_load_dword v1, v[1:2], off
	s_waitcnt vmcnt(0)
	v_cmp_neq_f32_e32 vcc, 0, v1
	v_addc_co_u32_e32 v5, vcc, 0, v5, vcc
.LBB5_15:
	s_or_b64 exec, exec, s[0:1]
.LBB5_16:
	v_lshlrev_b32_e32 v1, 2, v0
	s_cmpk_lt_i32 s9, 0x100
	s_mov_b64 s[0:1], -1
	v_cmp_eq_u32_e32 vcc, 0, v0
	ds_write_b32 v1, v5
	s_waitcnt lgkmcnt(0)
	s_cbranch_scc1 .LBB5_20
; %bb.17:
	s_and_b64 vcc, exec, s[0:1]
	s_cbranch_vccnz .LBB5_30
.LBB5_18:
	v_cmp_eq_u32_e32 vcc, 0, v0
	s_and_saveexec_b64 s[0:1], vcc
	s_cbranch_execnz .LBB5_47
.LBB5_19:
	s_endpgm
.LBB5_20:
	s_cmp_gt_i32 s9, 1
	s_cselect_b64 s[0:1], -1, 0
	s_mov_b32 s3, 1
	s_and_b64 s[10:11], vcc, s[0:1]
	s_barrier
	s_and_saveexec_b64 s[0:1], s[10:11]
	s_cbranch_execz .LBB5_29
; %bb.21:
	v_mov_b32_e32 v2, 0
	ds_read_b32 v2, v2
	s_add_i32 s2, s9, -1
	s_add_i32 s7, s9, -2
	s_cmp_lt_u32 s7, 7
	s_cbranch_scc1 .LBB5_25
; %bb.22:
	s_and_b32 s3, s2, -8
	s_mov_b32 s8, 0
	s_mov_b32 s7, 4
.LBB5_23:                               ; =>This Inner Loop Header: Depth=1
	v_mov_b32_e32 v9, s7
	ds_read2_b32 v[3:4], v9 offset1:1
	ds_read2_b32 v[5:6], v9 offset0:2 offset1:3
	ds_read2_b32 v[7:8], v9 offset0:4 offset1:5
	;; [unrolled: 1-line block ×3, first 2 shown]
	s_mov_b32 s9, s8
	s_waitcnt lgkmcnt(3)
	v_add_u32_e32 v2, v2, v3
	v_add_u32_e32 v2, v2, v4
	s_waitcnt lgkmcnt(2)
	v_add_u32_e32 v2, v2, v5
	v_add_u32_e32 v2, v2, v6
	;; [unrolled: 3-line block ×3, first 2 shown]
	s_add_i32 s7, s7, 32
	s_add_i32 s8, s8, 8
	s_waitcnt lgkmcnt(0)
	v_add_u32_e32 v2, v2, v9
	s_cmp_lg_u32 s3, s8
	v_add_u32_e32 v2, v2, v10
	s_cbranch_scc1 .LBB5_23
; %bb.24:
	s_add_i32 s3, s9, 9
.LBB5_25:
	s_and_b32 s2, s2, 7
	s_cmp_eq_u32 s2, 0
	s_cbranch_scc1 .LBB5_28
; %bb.26:
	s_lshl_b32 s3, s3, 2
.LBB5_27:                               ; =>This Inner Loop Header: Depth=1
	v_mov_b32_e32 v3, s3
	ds_read_b32 v3, v3
	s_add_i32 s3, s3, 4
	s_add_i32 s2, s2, -1
	s_cmp_lg_u32 s2, 0
	s_waitcnt lgkmcnt(0)
	v_add_u32_e32 v2, v2, v3
	s_cbranch_scc1 .LBB5_27
.LBB5_28:
	v_mov_b32_e32 v3, 0
	s_waitcnt lgkmcnt(0)
	ds_write_b32 v3, v2
.LBB5_29:
	s_or_b64 exec, exec, s[0:1]
	s_waitcnt lgkmcnt(0)
	s_barrier
	s_branch .LBB5_18
.LBB5_30:
	s_movk_i32 s0, 0x80
	v_cmp_gt_u32_e32 vcc, s0, v0
	s_barrier
	s_and_saveexec_b64 s[0:1], vcc
	s_cbranch_execz .LBB5_32
; %bb.31:
	ds_read2st64_b32 v[2:3], v1 offset1:2
	s_waitcnt lgkmcnt(0)
	v_add_u32_e32 v2, v2, v3
	ds_write_b32 v1, v2
.LBB5_32:
	s_or_b64 exec, exec, s[0:1]
	v_cmp_gt_u32_e32 vcc, 64, v0
	s_waitcnt lgkmcnt(0)
	s_barrier
	s_and_saveexec_b64 s[0:1], vcc
	s_cbranch_execz .LBB5_34
; %bb.33:
	ds_read2st64_b32 v[2:3], v1 offset1:1
	s_waitcnt lgkmcnt(0)
	v_add_u32_e32 v2, v2, v3
	ds_write_b32 v1, v2
.LBB5_34:
	s_or_b64 exec, exec, s[0:1]
	v_cmp_gt_u32_e32 vcc, 32, v0
	s_waitcnt lgkmcnt(0)
	s_barrier
	s_and_saveexec_b64 s[0:1], vcc
	s_cbranch_execz .LBB5_36
; %bb.35:
	ds_read2_b32 v[2:3], v1 offset1:32
	s_waitcnt lgkmcnt(0)
	v_add_u32_e32 v2, v2, v3
	ds_write_b32 v1, v2
.LBB5_36:
	s_or_b64 exec, exec, s[0:1]
	v_cmp_gt_u32_e32 vcc, 16, v0
	s_waitcnt lgkmcnt(0)
	s_barrier
	s_and_saveexec_b64 s[0:1], vcc
	s_cbranch_execz .LBB5_38
; %bb.37:
	ds_read2_b32 v[2:3], v1 offset1:16
	s_waitcnt lgkmcnt(0)
	v_add_u32_e32 v2, v2, v3
	ds_write_b32 v1, v2
.LBB5_38:
	;; [unrolled: 12-line block ×5, first 2 shown]
	s_or_b64 exec, exec, s[0:1]
	v_cmp_eq_u32_e32 vcc, 0, v0
	s_waitcnt lgkmcnt(0)
	s_barrier
	s_and_saveexec_b64 s[0:1], vcc
	s_cbranch_execz .LBB5_46
; %bb.45:
	v_mov_b32_e32 v3, 0
	ds_read_b64 v[1:2], v3
	s_waitcnt lgkmcnt(0)
	v_add_u32_e32 v1, v1, v2
	ds_write_b32 v3, v1
.LBB5_46:
	s_or_b64 exec, exec, s[0:1]
	s_waitcnt lgkmcnt(0)
	s_barrier
	v_cmp_eq_u32_e32 vcc, 0, v0
	s_and_saveexec_b64 s[0:1], vcc
	s_cbranch_execz .LBB5_19
.LBB5_47:
	v_mov_b32_e32 v0, 0
	ds_read_b32 v1, v0
	s_ashr_i32 s7, s6, 31
	s_lshl_b64 s[0:1], s[6:7], 2
	s_add_u32 s0, s4, s0
	s_addc_u32 s1, s5, s1
	s_waitcnt lgkmcnt(0)
	global_store_dword v0, v1, s[0:1]
	s_endpgm
	.section	.rodata,"a",@progbits
	.p2align	6, 0x0
	.amdhsa_kernel _ZN9rocsparseL14nnz_kernel_colILi256EiifEEv16rocsparse_order_T1_S2_PKT2_lPT0_
		.amdhsa_group_segment_fixed_size 1024
		.amdhsa_private_segment_fixed_size 0
		.amdhsa_kernarg_size 40
		.amdhsa_user_sgpr_count 6
		.amdhsa_user_sgpr_private_segment_buffer 1
		.amdhsa_user_sgpr_dispatch_ptr 0
		.amdhsa_user_sgpr_queue_ptr 0
		.amdhsa_user_sgpr_kernarg_segment_ptr 1
		.amdhsa_user_sgpr_dispatch_id 0
		.amdhsa_user_sgpr_flat_scratch_init 0
		.amdhsa_user_sgpr_private_segment_size 0
		.amdhsa_uses_dynamic_stack 0
		.amdhsa_system_sgpr_private_segment_wavefront_offset 0
		.amdhsa_system_sgpr_workgroup_id_x 1
		.amdhsa_system_sgpr_workgroup_id_y 0
		.amdhsa_system_sgpr_workgroup_id_z 0
		.amdhsa_system_sgpr_workgroup_info 0
		.amdhsa_system_vgpr_workitem_id 0
		.amdhsa_next_free_vgpr 11
		.amdhsa_next_free_sgpr 16
		.amdhsa_reserve_vcc 1
		.amdhsa_reserve_flat_scratch 0
		.amdhsa_float_round_mode_32 0
		.amdhsa_float_round_mode_16_64 0
		.amdhsa_float_denorm_mode_32 3
		.amdhsa_float_denorm_mode_16_64 3
		.amdhsa_dx10_clamp 1
		.amdhsa_ieee_mode 1
		.amdhsa_fp16_overflow 0
		.amdhsa_exception_fp_ieee_invalid_op 0
		.amdhsa_exception_fp_denorm_src 0
		.amdhsa_exception_fp_ieee_div_zero 0
		.amdhsa_exception_fp_ieee_overflow 0
		.amdhsa_exception_fp_ieee_underflow 0
		.amdhsa_exception_fp_ieee_inexact 0
		.amdhsa_exception_int_div_zero 0
	.end_amdhsa_kernel
	.section	.text._ZN9rocsparseL14nnz_kernel_colILi256EiifEEv16rocsparse_order_T1_S2_PKT2_lPT0_,"axG",@progbits,_ZN9rocsparseL14nnz_kernel_colILi256EiifEEv16rocsparse_order_T1_S2_PKT2_lPT0_,comdat
.Lfunc_end5:
	.size	_ZN9rocsparseL14nnz_kernel_colILi256EiifEEv16rocsparse_order_T1_S2_PKT2_lPT0_, .Lfunc_end5-_ZN9rocsparseL14nnz_kernel_colILi256EiifEEv16rocsparse_order_T1_S2_PKT2_lPT0_
                                        ; -- End function
	.set _ZN9rocsparseL14nnz_kernel_colILi256EiifEEv16rocsparse_order_T1_S2_PKT2_lPT0_.num_vgpr, 11
	.set _ZN9rocsparseL14nnz_kernel_colILi256EiifEEv16rocsparse_order_T1_S2_PKT2_lPT0_.num_agpr, 0
	.set _ZN9rocsparseL14nnz_kernel_colILi256EiifEEv16rocsparse_order_T1_S2_PKT2_lPT0_.numbered_sgpr, 16
	.set _ZN9rocsparseL14nnz_kernel_colILi256EiifEEv16rocsparse_order_T1_S2_PKT2_lPT0_.num_named_barrier, 0
	.set _ZN9rocsparseL14nnz_kernel_colILi256EiifEEv16rocsparse_order_T1_S2_PKT2_lPT0_.private_seg_size, 0
	.set _ZN9rocsparseL14nnz_kernel_colILi256EiifEEv16rocsparse_order_T1_S2_PKT2_lPT0_.uses_vcc, 1
	.set _ZN9rocsparseL14nnz_kernel_colILi256EiifEEv16rocsparse_order_T1_S2_PKT2_lPT0_.uses_flat_scratch, 0
	.set _ZN9rocsparseL14nnz_kernel_colILi256EiifEEv16rocsparse_order_T1_S2_PKT2_lPT0_.has_dyn_sized_stack, 0
	.set _ZN9rocsparseL14nnz_kernel_colILi256EiifEEv16rocsparse_order_T1_S2_PKT2_lPT0_.has_recursion, 0
	.set _ZN9rocsparseL14nnz_kernel_colILi256EiifEEv16rocsparse_order_T1_S2_PKT2_lPT0_.has_indirect_call, 0
	.section	.AMDGPU.csdata,"",@progbits
; Kernel info:
; codeLenInByte = 1304
; TotalNumSgprs: 20
; NumVgprs: 11
; ScratchSize: 0
; MemoryBound: 0
; FloatMode: 240
; IeeeMode: 1
; LDSByteSize: 1024 bytes/workgroup (compile time only)
; SGPRBlocks: 2
; VGPRBlocks: 2
; NumSGPRsForWavesPerEU: 20
; NumVGPRsForWavesPerEU: 11
; Occupancy: 10
; WaveLimiterHint : 0
; COMPUTE_PGM_RSRC2:SCRATCH_EN: 0
; COMPUTE_PGM_RSRC2:USER_SGPR: 6
; COMPUTE_PGM_RSRC2:TRAP_HANDLER: 0
; COMPUTE_PGM_RSRC2:TGID_X_EN: 1
; COMPUTE_PGM_RSRC2:TGID_Y_EN: 0
; COMPUTE_PGM_RSRC2:TGID_Z_EN: 0
; COMPUTE_PGM_RSRC2:TIDIG_COMP_CNT: 0
	.section	.text._ZN9rocsparseL14nnz_kernel_rowILi64ELi16EiidEEv16rocsparse_order_T2_S2_PKT3_lPT1_,"axG",@progbits,_ZN9rocsparseL14nnz_kernel_rowILi64ELi16EiidEEv16rocsparse_order_T2_S2_PKT3_lPT1_,comdat
	.globl	_ZN9rocsparseL14nnz_kernel_rowILi64ELi16EiidEEv16rocsparse_order_T2_S2_PKT3_lPT1_ ; -- Begin function _ZN9rocsparseL14nnz_kernel_rowILi64ELi16EiidEEv16rocsparse_order_T2_S2_PKT3_lPT1_
	.p2align	8
	.type	_ZN9rocsparseL14nnz_kernel_rowILi64ELi16EiidEEv16rocsparse_order_T2_S2_PKT3_lPT1_,@function
_ZN9rocsparseL14nnz_kernel_rowILi64ELi16EiidEEv16rocsparse_order_T2_S2_PKT3_lPT1_: ; @_ZN9rocsparseL14nnz_kernel_rowILi64ELi16EiidEEv16rocsparse_order_T2_S2_PKT3_lPT1_
; %bb.0:
	s_load_dword s0, s[4:5], 0x34
	s_load_dwordx2 s[24:25], s[4:5], 0x20
	s_load_dwordx8 s[16:23], s[4:5], 0x0
	s_waitcnt lgkmcnt(0)
	s_lshl_b32 s19, s6, 8
	s_and_b32 s0, s0, 0xffff
	v_mad_u32_u24 v14, v1, s0, v0
	s_ashr_i32 s0, s18, 31
	s_lshr_b32 s0, s0, 26
	v_and_b32_e32 v15, 63, v14
	s_add_i32 s33, s18, s0
	v_lshrrev_b32_e32 v0, 4, v14
	v_or_b32_e32 v10, s19, v15
	s_andn2_b32 s33, s33, 63
	v_and_b32_e32 v8, 0x7ffffc, v0
	v_mov_b32_e32 v0, 0
	v_cmp_gt_i32_e32 vcc, s33, v8
	v_mov_b32_e32 v1, v0
	v_mov_b32_e32 v2, v0
	;; [unrolled: 1-line block ×3, first 2 shown]
	v_or_b32_e32 v16, 64, v10
	s_and_saveexec_b64 s[26:27], vcc
	s_cbranch_execz .LBB6_28
; %bb.1:
	v_lshrrev_b32_e32 v29, 6, v14
	v_add_u32_e32 v1, s19, v15
	v_lshlrev_b32_e32 v21, 2, v29
	v_ashrrev_i32_e32 v2, 31, v1
	v_or_b32_e32 v11, 3, v21
	v_mul_lo_u32 v7, s22, v2
	v_mul_lo_u32 v9, s23, v1
	v_mad_u64_u32 v[3:4], s[0:1], s22, v1, 0
	v_mad_u64_u32 v[5:6], s[0:1], s22, v11, 0
	v_add3_u32 v4, v4, v7, v9
	v_lshlrev_b64 v[3:4], 3, v[3:4]
	v_mad_u64_u32 v[6:7], s[0:1], s23, v11, v[6:7]
	v_or_b32_e32 v11, 2, v21
	v_mad_u64_u32 v[19:20], s[0:1], s22, v11, 0
	v_add_u32_e32 v7, 64, v1
	v_ashrrev_i32_e32 v9, 31, v7
	v_mul_lo_u32 v25, s23, v7
	v_mad_u64_u32 v[17:18], s[0:1], s22, v7, 0
	v_mov_b32_e32 v7, v20
	v_mad_u64_u32 v[11:12], s[0:1], s23, v11, v[7:8]
	v_mov_b32_e32 v12, s22
	v_mov_b32_e32 v13, s23
	v_mad_u64_u32 v[23:24], s[0:1], s22, v21, v[12:13]
	v_add_u32_e32 v20, 0x80, v1
	v_ashrrev_i32_e32 v7, 31, v20
	v_mul_lo_u32 v26, s22, v7
	v_mov_b32_e32 v7, v24
	v_mul_lo_u32 v27, s23, v20
	v_mad_u64_u32 v[12:13], s[0:1], s23, v21, v[7:8]
	v_mad_u64_u32 v[21:22], s[0:1], s22, v20, 0
	v_mul_lo_u32 v9, s22, v9
	v_add_u32_e32 v7, 0xc0, v1
	v_add3_u32 v22, v22, v26, v27
	v_mad_u64_u32 v[27:28], s[0:1], s22, v29, 0
	v_add3_u32 v18, v18, v9, v25
	v_ashrrev_i32_e32 v9, 31, v7
	v_mul_lo_u32 v9, s22, v9
	v_mul_lo_u32 v13, s23, v7
	v_mad_u64_u32 v[25:26], s[0:1], s22, v7, 0
	v_mov_b32_e32 v7, v28
	v_mov_b32_e32 v20, v11
	;; [unrolled: 1-line block ×3, first 2 shown]
	v_mad_u64_u32 v[11:12], s[0:1], s23, v29, v[7:8]
	v_or_b32_e32 v7, 0x80, v10
	v_cmp_gt_i32_e64 s[0:1], s17, v7
	v_or_b32_e32 v7, 0xc0, v10
	v_cmp_gt_i32_e64 s[2:3], s17, v7
	v_lshlrev_b32_e32 v7, 5, v29
	v_add3_u32 v26, v26, v9, v13
	v_add_co_u32_e32 v9, vcc, v3, v7
	v_mov_b32_e32 v28, v11
	v_addc_co_u32_e32 v11, vcc, 0, v4, vcc
	v_lshlrev_b64 v[3:4], 3, v[5:6]
	v_lshlrev_b64 v[1:2], 3, v[1:2]
	s_cmp_lg_u32 s16, 1
	v_add_co_u32_e32 v12, vcc, v3, v1
	v_addc_co_u32_e32 v13, vcc, v4, v2, vcc
	v_lshlrev_b64 v[3:4], 3, v[17:18]
	s_cselect_b64 s[28:29], -1, 0
	v_add_co_u32_e32 v17, vcc, v3, v7
	v_addc_co_u32_e32 v18, vcc, 0, v4, vcc
	v_lshlrev_b64 v[3:4], 3, v[19:20]
	v_cmp_gt_i32_e64 s[4:5], s17, v10
	v_add_co_u32_e32 v19, vcc, v3, v1
	v_addc_co_u32_e32 v20, vcc, v4, v2, vcc
	v_lshlrev_b64 v[3:4], 3, v[21:22]
	v_cmp_gt_i32_e64 s[6:7], s17, v16
	v_add_co_u32_e32 v21, vcc, v3, v7
	v_addc_co_u32_e32 v22, vcc, 0, v4, vcc
	v_lshlrev_b64 v[3:4], 3, v[23:24]
	s_lshl_b64 s[30:31], s[22:23], 9
	v_add_co_u32_e32 v23, vcc, v3, v1
	v_addc_co_u32_e32 v24, vcc, v4, v2, vcc
	v_lshlrev_b64 v[3:4], 3, v[25:26]
	s_mov_b64 s[34:35], 0
	v_add_co_u32_e32 v25, vcc, v3, v7
	v_addc_co_u32_e32 v26, vcc, 0, v4, vcc
	v_lshlrev_b64 v[3:4], 5, v[27:28]
	v_add_co_u32_e32 v27, vcc, v3, v1
	v_addc_co_u32_e32 v28, vcc, v4, v2, vcc
	v_mov_b32_e32 v1, v0
	v_mov_b32_e32 v2, v0
	;; [unrolled: 1-line block ×3, first 2 shown]
	s_branch .LBB6_4
.LBB6_2:                                ;   in Loop: Header=BB6_4 Depth=1
	v_mov_b32_e32 v0, v4
	v_mov_b32_e32 v1, v5
	v_mov_b32_e32 v2, v6
	v_mov_b32_e32 v3, v7
.LBB6_3:                                ;   in Loop: Header=BB6_4 Depth=1
	s_or_b64 exec, exec, s[10:11]
	v_add_co_u32_e32 v9, vcc, 0x200, v9
	v_addc_co_u32_e32 v11, vcc, 0, v11, vcc
	v_mov_b32_e32 v4, s31
	v_add_co_u32_e32 v12, vcc, s30, v12
	v_addc_co_u32_e32 v13, vcc, v13, v4, vcc
	v_add_co_u32_e32 v17, vcc, 0x200, v17
	v_addc_co_u32_e32 v18, vcc, 0, v18, vcc
	;; [unrolled: 2-line block ×5, first 2 shown]
	v_add_co_u32_e32 v25, vcc, 0x200, v25
	v_add_u32_e32 v8, 64, v8
	v_addc_co_u32_e32 v26, vcc, 0, v26, vcc
	v_cmp_le_i32_e32 vcc, s33, v8
	s_or_b64 s[34:35], vcc, s[34:35]
	v_add_co_u32_e32 v27, vcc, s30, v27
	v_addc_co_u32_e32 v28, vcc, v28, v4, vcc
	s_andn2_b64 exec, exec, s[34:35]
	s_cbranch_execz .LBB6_27
.LBB6_4:                                ; =>This Inner Loop Header: Depth=1
	v_cndmask_b32_e64 v4, 0, 1, s[28:29]
	v_cmp_ne_u32_e64 s[8:9], 1, v4
	s_and_saveexec_b64 s[36:37], s[4:5]
	s_cbranch_execnz .LBB6_8
; %bb.5:                                ;   in Loop: Header=BB6_4 Depth=1
	s_or_b64 exec, exec, s[36:37]
	s_and_saveexec_b64 s[10:11], s[6:7]
	s_cbranch_execnz .LBB6_13
.LBB6_6:                                ;   in Loop: Header=BB6_4 Depth=1
	s_or_b64 exec, exec, s[10:11]
	s_and_saveexec_b64 s[10:11], s[0:1]
	s_cbranch_execnz .LBB6_18
.LBB6_7:                                ;   in Loop: Header=BB6_4 Depth=1
	s_or_b64 exec, exec, s[10:11]
	s_and_saveexec_b64 s[10:11], s[2:3]
	s_cbranch_execz .LBB6_3
	s_branch .LBB6_23
.LBB6_8:                                ;   in Loop: Header=BB6_4 Depth=1
	s_mov_b64 s[10:11], -1
	s_and_b64 vcc, exec, s[8:9]
	v_add_u32_e32 v29, 1, v0
                                        ; implicit-def: $vgpr4_vgpr5_vgpr6_vgpr7
	s_cbranch_vccnz .LBB6_10
; %bb.9:                                ;   in Loop: Header=BB6_4 Depth=1
	v_add_co_u32_e32 v30, vcc, s20, v9
	v_mov_b32_e32 v4, s21
	v_addc_co_u32_e32 v31, vcc, v4, v11, vcc
	global_load_dwordx4 v[4:7], v[30:31], off
	s_nop 0
	global_load_dwordx4 v[30:33], v[30:31], off offset:16
	s_waitcnt vmcnt(1)
	v_cmp_neq_f64_e32 vcc, 0, v[4:5]
	v_cmp_neq_f64_e64 s[10:11], 0, v[6:7]
	s_waitcnt vmcnt(0)
	v_cmp_neq_f64_e64 s[12:13], 0, v[30:31]
	v_cmp_neq_f64_e64 s[14:15], 0, v[32:33]
	v_mov_b32_e32 v5, v1
	v_mov_b32_e32 v6, v2
	;; [unrolled: 1-line block ×3, first 2 shown]
	v_cndmask_b32_e32 v4, v0, v29, vcc
	v_add_u32_e32 v30, 1, v4
	v_cndmask_b32_e64 v4, v4, v30, s[10:11]
	v_add_u32_e32 v30, 1, v4
	v_cndmask_b32_e64 v4, v4, v30, s[12:13]
	;; [unrolled: 2-line block ×3, first 2 shown]
	s_mov_b64 s[10:11], 0
.LBB6_10:                               ;   in Loop: Header=BB6_4 Depth=1
	s_andn2_b64 vcc, exec, s[10:11]
	s_cbranch_vccnz .LBB6_12
; %bb.11:                               ;   in Loop: Header=BB6_4 Depth=1
	v_mov_b32_e32 v5, s21
	v_add_co_u32_e32 v4, vcc, s20, v27
	v_addc_co_u32_e32 v5, vcc, v5, v28, vcc
	global_load_dwordx2 v[4:5], v[4:5], off
	v_mov_b32_e32 v7, s21
	v_add_co_u32_e32 v6, vcc, s20, v23
	v_addc_co_u32_e32 v7, vcc, v7, v24, vcc
	v_mov_b32_e32 v31, s21
	v_add_co_u32_e32 v30, vcc, s20, v19
	v_addc_co_u32_e32 v31, vcc, v31, v20, vcc
	global_load_dwordx2 v[6:7], v[6:7], off
	s_nop 0
	global_load_dwordx2 v[30:31], v[30:31], off
	v_mov_b32_e32 v33, s21
	v_add_co_u32_e32 v32, vcc, s20, v12
	v_addc_co_u32_e32 v33, vcc, v33, v13, vcc
	global_load_dwordx2 v[32:33], v[32:33], off
	s_waitcnt vmcnt(3)
	v_cmp_neq_f64_e32 vcc, 0, v[4:5]
	v_cndmask_b32_e32 v0, v0, v29, vcc
	v_add_u32_e32 v4, 1, v0
	s_waitcnt vmcnt(2)
	v_cmp_neq_f64_e32 vcc, 0, v[6:7]
	v_cndmask_b32_e32 v0, v0, v4, vcc
	s_waitcnt vmcnt(1)
	v_cmp_neq_f64_e32 vcc, 0, v[30:31]
	v_add_u32_e32 v4, 1, v0
	v_cndmask_b32_e32 v0, v0, v4, vcc
	s_waitcnt vmcnt(0)
	v_cmp_neq_f64_e32 vcc, 0, v[32:33]
	v_add_u32_e32 v4, 1, v0
	v_cndmask_b32_e32 v0, v0, v4, vcc
	v_mov_b32_e32 v7, v3
	v_mov_b32_e32 v6, v2
	;; [unrolled: 1-line block ×4, first 2 shown]
.LBB6_12:                               ;   in Loop: Header=BB6_4 Depth=1
	v_mov_b32_e32 v0, v4
	v_mov_b32_e32 v1, v5
	;; [unrolled: 1-line block ×4, first 2 shown]
	s_or_b64 exec, exec, s[36:37]
	s_and_saveexec_b64 s[10:11], s[6:7]
	s_cbranch_execz .LBB6_6
.LBB6_13:                               ;   in Loop: Header=BB6_4 Depth=1
	s_mov_b64 s[12:13], -1
	s_and_b64 vcc, exec, s[8:9]
	v_add_u32_e32 v29, 1, v1
                                        ; implicit-def: $vgpr4_vgpr5_vgpr6_vgpr7
	s_cbranch_vccnz .LBB6_15
; %bb.14:                               ;   in Loop: Header=BB6_4 Depth=1
	v_add_co_u32_e32 v30, vcc, s20, v17
	v_mov_b32_e32 v4, s21
	v_addc_co_u32_e32 v31, vcc, v4, v18, vcc
	global_load_dwordx4 v[4:7], v[30:31], off offset:16
	s_nop 0
	global_load_dwordx4 v[30:33], v[30:31], off
	s_mov_b64 s[12:13], 0
	s_waitcnt vmcnt(0)
	v_cmp_neq_f64_e32 vcc, 0, v[30:31]
	v_cndmask_b32_e32 v30, v1, v29, vcc
	v_cmp_neq_f64_e32 vcc, 0, v[32:33]
	v_add_u32_e32 v31, 1, v30
	v_cndmask_b32_e32 v30, v30, v31, vcc
	v_cmp_neq_f64_e32 vcc, 0, v[4:5]
	v_add_u32_e32 v4, 1, v30
	;; [unrolled: 3-line block ×3, first 2 shown]
	v_mov_b32_e32 v6, v2
	v_mov_b32_e32 v7, v3
	v_cndmask_b32_e32 v5, v4, v5, vcc
	v_mov_b32_e32 v4, v0
.LBB6_15:                               ;   in Loop: Header=BB6_4 Depth=1
	s_andn2_b64 vcc, exec, s[12:13]
	s_cbranch_vccnz .LBB6_17
; %bb.16:                               ;   in Loop: Header=BB6_4 Depth=1
	v_mov_b32_e32 v5, s21
	v_add_co_u32_e32 v4, vcc, s20, v27
	v_addc_co_u32_e32 v5, vcc, v5, v28, vcc
	global_load_dwordx2 v[4:5], v[4:5], off offset:512
	v_mov_b32_e32 v7, s21
	v_add_co_u32_e32 v6, vcc, s20, v23
	v_addc_co_u32_e32 v7, vcc, v7, v24, vcc
	v_mov_b32_e32 v31, s21
	v_add_co_u32_e32 v30, vcc, s20, v19
	v_addc_co_u32_e32 v31, vcc, v31, v20, vcc
	global_load_dwordx2 v[6:7], v[6:7], off offset:512
	s_nop 0
	global_load_dwordx2 v[30:31], v[30:31], off offset:512
	v_mov_b32_e32 v33, s21
	v_add_co_u32_e32 v32, vcc, s20, v12
	v_addc_co_u32_e32 v33, vcc, v33, v13, vcc
	global_load_dwordx2 v[32:33], v[32:33], off offset:512
	s_waitcnt vmcnt(3)
	v_cmp_neq_f64_e32 vcc, 0, v[4:5]
	v_cndmask_b32_e32 v1, v1, v29, vcc
	v_add_u32_e32 v4, 1, v1
	s_waitcnt vmcnt(2)
	v_cmp_neq_f64_e32 vcc, 0, v[6:7]
	v_cndmask_b32_e32 v1, v1, v4, vcc
	s_waitcnt vmcnt(1)
	v_cmp_neq_f64_e32 vcc, 0, v[30:31]
	v_add_u32_e32 v4, 1, v1
	v_cndmask_b32_e32 v1, v1, v4, vcc
	s_waitcnt vmcnt(0)
	v_cmp_neq_f64_e32 vcc, 0, v[32:33]
	v_add_u32_e32 v4, 1, v1
	v_cndmask_b32_e32 v1, v1, v4, vcc
	v_mov_b32_e32 v7, v3
	v_mov_b32_e32 v6, v2
	;; [unrolled: 1-line block ×4, first 2 shown]
.LBB6_17:                               ;   in Loop: Header=BB6_4 Depth=1
	v_mov_b32_e32 v0, v4
	v_mov_b32_e32 v1, v5
	;; [unrolled: 1-line block ×4, first 2 shown]
	s_or_b64 exec, exec, s[10:11]
	s_and_saveexec_b64 s[10:11], s[0:1]
	s_cbranch_execz .LBB6_7
.LBB6_18:                               ;   in Loop: Header=BB6_4 Depth=1
	s_mov_b64 s[12:13], -1
	s_and_b64 vcc, exec, s[8:9]
	v_add_u32_e32 v29, 1, v2
                                        ; implicit-def: $vgpr4_vgpr5_vgpr6_vgpr7
	s_cbranch_vccnz .LBB6_20
; %bb.19:                               ;   in Loop: Header=BB6_4 Depth=1
	v_add_co_u32_e32 v30, vcc, s20, v21
	v_mov_b32_e32 v4, s21
	v_addc_co_u32_e32 v31, vcc, v4, v22, vcc
	global_load_dwordx4 v[4:7], v[30:31], off offset:16
	s_nop 0
	global_load_dwordx4 v[30:33], v[30:31], off
	s_mov_b64 s[12:13], 0
	s_waitcnt vmcnt(0)
	v_cmp_neq_f64_e32 vcc, 0, v[30:31]
	v_cndmask_b32_e32 v30, v2, v29, vcc
	v_cmp_neq_f64_e32 vcc, 0, v[32:33]
	v_add_u32_e32 v31, 1, v30
	v_cndmask_b32_e32 v30, v30, v31, vcc
	v_cmp_neq_f64_e32 vcc, 0, v[4:5]
	v_add_u32_e32 v4, 1, v30
	;; [unrolled: 3-line block ×3, first 2 shown]
	v_mov_b32_e32 v7, v3
	v_cndmask_b32_e32 v6, v4, v5, vcc
	v_mov_b32_e32 v4, v0
	v_mov_b32_e32 v5, v1
.LBB6_20:                               ;   in Loop: Header=BB6_4 Depth=1
	s_andn2_b64 vcc, exec, s[12:13]
	s_cbranch_vccnz .LBB6_22
; %bb.21:                               ;   in Loop: Header=BB6_4 Depth=1
	v_mov_b32_e32 v5, s21
	v_add_co_u32_e32 v4, vcc, s20, v27
	v_addc_co_u32_e32 v5, vcc, v5, v28, vcc
	global_load_dwordx2 v[4:5], v[4:5], off offset:1024
	v_mov_b32_e32 v7, s21
	v_add_co_u32_e32 v6, vcc, s20, v23
	v_addc_co_u32_e32 v7, vcc, v7, v24, vcc
	v_mov_b32_e32 v31, s21
	v_add_co_u32_e32 v30, vcc, s20, v19
	v_addc_co_u32_e32 v31, vcc, v31, v20, vcc
	global_load_dwordx2 v[6:7], v[6:7], off offset:1024
	s_nop 0
	global_load_dwordx2 v[30:31], v[30:31], off offset:1024
	v_mov_b32_e32 v33, s21
	v_add_co_u32_e32 v32, vcc, s20, v12
	v_addc_co_u32_e32 v33, vcc, v33, v13, vcc
	global_load_dwordx2 v[32:33], v[32:33], off offset:1024
	s_waitcnt vmcnt(3)
	v_cmp_neq_f64_e32 vcc, 0, v[4:5]
	v_cndmask_b32_e32 v2, v2, v29, vcc
	v_add_u32_e32 v4, 1, v2
	s_waitcnt vmcnt(2)
	v_cmp_neq_f64_e32 vcc, 0, v[6:7]
	v_cndmask_b32_e32 v2, v2, v4, vcc
	s_waitcnt vmcnt(1)
	v_cmp_neq_f64_e32 vcc, 0, v[30:31]
	v_add_u32_e32 v4, 1, v2
	v_cndmask_b32_e32 v2, v2, v4, vcc
	s_waitcnt vmcnt(0)
	v_cmp_neq_f64_e32 vcc, 0, v[32:33]
	v_add_u32_e32 v4, 1, v2
	v_cndmask_b32_e32 v2, v2, v4, vcc
	v_mov_b32_e32 v7, v3
	v_mov_b32_e32 v6, v2
	;; [unrolled: 1-line block ×4, first 2 shown]
.LBB6_22:                               ;   in Loop: Header=BB6_4 Depth=1
	v_mov_b32_e32 v0, v4
	v_mov_b32_e32 v1, v5
	;; [unrolled: 1-line block ×4, first 2 shown]
	s_or_b64 exec, exec, s[10:11]
	s_and_saveexec_b64 s[10:11], s[2:3]
	s_cbranch_execz .LBB6_3
.LBB6_23:                               ;   in Loop: Header=BB6_4 Depth=1
	s_mov_b64 s[12:13], -1
	s_and_b64 vcc, exec, s[8:9]
	v_add_u32_e32 v29, 1, v3
                                        ; implicit-def: $vgpr4_vgpr5_vgpr6_vgpr7
	s_cbranch_vccnz .LBB6_25
; %bb.24:                               ;   in Loop: Header=BB6_4 Depth=1
	v_add_co_u32_e32 v30, vcc, s20, v25
	v_mov_b32_e32 v4, s21
	v_addc_co_u32_e32 v31, vcc, v4, v26, vcc
	global_load_dwordx4 v[4:7], v[30:31], off offset:16
	s_nop 0
	global_load_dwordx4 v[30:33], v[30:31], off
	s_mov_b64 s[12:13], 0
	s_waitcnt vmcnt(0)
	v_cmp_neq_f64_e32 vcc, 0, v[30:31]
	v_cndmask_b32_e32 v30, v3, v29, vcc
	v_cmp_neq_f64_e32 vcc, 0, v[32:33]
	v_add_u32_e32 v31, 1, v30
	v_cndmask_b32_e32 v30, v30, v31, vcc
	v_cmp_neq_f64_e32 vcc, 0, v[4:5]
	v_add_u32_e32 v4, 1, v30
	;; [unrolled: 3-line block ×3, first 2 shown]
	v_mov_b32_e32 v6, v2
	v_cndmask_b32_e32 v7, v4, v5, vcc
	v_mov_b32_e32 v4, v0
	v_mov_b32_e32 v5, v1
.LBB6_25:                               ;   in Loop: Header=BB6_4 Depth=1
	s_andn2_b64 vcc, exec, s[12:13]
	s_cbranch_vccnz .LBB6_2
; %bb.26:                               ;   in Loop: Header=BB6_4 Depth=1
	v_mov_b32_e32 v5, s21
	v_add_co_u32_e32 v4, vcc, s20, v27
	v_addc_co_u32_e32 v5, vcc, v5, v28, vcc
	global_load_dwordx2 v[4:5], v[4:5], off offset:1536
	v_mov_b32_e32 v7, s21
	v_add_co_u32_e32 v6, vcc, s20, v23
	v_addc_co_u32_e32 v7, vcc, v7, v24, vcc
	v_mov_b32_e32 v31, s21
	v_add_co_u32_e32 v30, vcc, s20, v19
	v_addc_co_u32_e32 v31, vcc, v31, v20, vcc
	global_load_dwordx2 v[6:7], v[6:7], off offset:1536
	s_nop 0
	global_load_dwordx2 v[30:31], v[30:31], off offset:1536
	v_mov_b32_e32 v33, s21
	v_add_co_u32_e32 v32, vcc, s20, v12
	v_addc_co_u32_e32 v33, vcc, v33, v13, vcc
	global_load_dwordx2 v[32:33], v[32:33], off offset:1536
	s_waitcnt vmcnt(3)
	v_cmp_neq_f64_e32 vcc, 0, v[4:5]
	v_cndmask_b32_e32 v3, v3, v29, vcc
	v_add_u32_e32 v4, 1, v3
	s_waitcnt vmcnt(2)
	v_cmp_neq_f64_e32 vcc, 0, v[6:7]
	v_cndmask_b32_e32 v3, v3, v4, vcc
	s_waitcnt vmcnt(1)
	v_cmp_neq_f64_e32 vcc, 0, v[30:31]
	v_add_u32_e32 v4, 1, v3
	v_cndmask_b32_e32 v3, v3, v4, vcc
	s_waitcnt vmcnt(0)
	v_cmp_neq_f64_e32 vcc, 0, v[32:33]
	v_add_u32_e32 v4, 1, v3
	v_cndmask_b32_e32 v3, v3, v4, vcc
	v_mov_b32_e32 v7, v3
	v_mov_b32_e32 v6, v2
	;; [unrolled: 1-line block ×4, first 2 shown]
	s_branch .LBB6_2
.LBB6_27:
	s_or_b64 exec, exec, s[34:35]
.LBB6_28:
	s_or_b64 exec, exec, s[26:27]
	s_sub_i32 s0, s18, s33
	s_cmp_lt_i32 s0, 1
	s_cbranch_scc1 .LBB6_134
; %bb.29:
	v_mov_b32_e32 v9, 0
	v_lshlrev_b64 v[4:5], 3, v[8:9]
	v_mov_b32_e32 v6, s21
	v_add_co_u32_e32 v9, vcc, s20, v4
	s_cmp_lg_u32 s16, 1
	v_addc_co_u32_e32 v17, vcc, v6, v5, vcc
	s_cselect_b64 s[0:1], -1, 0
	v_cmp_gt_i32_e32 vcc, s17, v10
	v_ashrrev_i32_e32 v11, 31, v10
	s_and_saveexec_b64 s[2:3], vcc
	s_cbranch_execz .LBB6_55
; %bb.30:
	v_mul_lo_u32 v6, s23, v10
	v_mul_lo_u32 v7, s22, v11
	v_mad_u64_u32 v[4:5], s[4:5], s22, v10, 0
	v_add3_u32 v5, v5, v7, v6
	v_lshlrev_b64 v[4:5], 3, v[4:5]
	v_mov_b32_e32 v6, s21
	v_add_co_u32_e32 v12, vcc, v9, v4
	v_addc_co_u32_e32 v13, vcc, v17, v5, vcc
	v_lshlrev_b64 v[4:5], 3, v[10:11]
	v_add_co_u32_e32 v18, vcc, s20, v4
	v_addc_co_u32_e32 v19, vcc, v6, v5, vcc
	v_cmp_gt_i32_e32 vcc, s18, v8
	s_and_saveexec_b64 s[4:5], vcc
	s_cbranch_execz .LBB6_36
; %bb.31:
	s_and_b64 vcc, exec, s[0:1]
	s_cbranch_vccz .LBB6_33
; %bb.32:
	global_load_dwordx2 v[4:5], v[12:13], off
	s_waitcnt vmcnt(0)
	v_cmp_neq_f64_e32 vcc, 0, v[4:5]
	v_mov_b32_e32 v7, v3
	v_mov_b32_e32 v4, v0
	;; [unrolled: 1-line block ×4, first 2 shown]
	v_addc_co_u32_e32 v20, vcc, 0, v0, vcc
	v_mov_b32_e32 v4, v20
	s_cbranch_execz .LBB6_34
	s_branch .LBB6_35
.LBB6_33:
                                        ; implicit-def: $vgpr4_vgpr5_vgpr6_vgpr7
.LBB6_34:
	v_mad_u64_u32 v[4:5], s[6:7], s22, v8, 0
	v_mad_u64_u32 v[5:6], s[6:7], s23, v8, v[5:6]
	v_lshlrev_b64 v[4:5], 3, v[4:5]
	v_add_co_u32_e32 v4, vcc, v18, v4
	v_addc_co_u32_e32 v5, vcc, v19, v5, vcc
	global_load_dwordx2 v[4:5], v[4:5], off
	s_waitcnt vmcnt(0)
	v_cmp_neq_f64_e32 vcc, 0, v[4:5]
	v_addc_co_u32_e32 v0, vcc, 0, v0, vcc
	v_mov_b32_e32 v7, v3
	v_mov_b32_e32 v6, v2
	v_mov_b32_e32 v5, v1
	v_mov_b32_e32 v4, v0
.LBB6_35:
	v_mov_b32_e32 v0, v4
	v_mov_b32_e32 v1, v5
	;; [unrolled: 1-line block ×4, first 2 shown]
.LBB6_36:
	s_or_b64 exec, exec, s[4:5]
	v_or_b32_e32 v20, 1, v8
	v_cmp_gt_i32_e32 vcc, s18, v20
	s_and_saveexec_b64 s[4:5], vcc
	s_cbranch_execz .LBB6_42
; %bb.37:
	s_andn2_b64 vcc, exec, s[0:1]
	s_cbranch_vccnz .LBB6_39
; %bb.38:
	global_load_dwordx2 v[4:5], v[12:13], off offset:8
	s_waitcnt vmcnt(0)
	v_cmp_neq_f64_e32 vcc, 0, v[4:5]
	v_mov_b32_e32 v7, v3
	v_mov_b32_e32 v4, v0
	v_mov_b32_e32 v6, v2
	v_mov_b32_e32 v5, v1
	v_addc_co_u32_e32 v21, vcc, 0, v0, vcc
	v_mov_b32_e32 v4, v21
	s_cbranch_execz .LBB6_40
	s_branch .LBB6_41
.LBB6_39:
                                        ; implicit-def: $vgpr4_vgpr5_vgpr6_vgpr7
.LBB6_40:
	v_mad_u64_u32 v[4:5], s[6:7], s22, v20, 0
	v_mad_u64_u32 v[5:6], s[6:7], s23, v20, v[5:6]
	v_lshlrev_b64 v[4:5], 3, v[4:5]
	v_add_co_u32_e32 v4, vcc, v18, v4
	v_addc_co_u32_e32 v5, vcc, v19, v5, vcc
	global_load_dwordx2 v[4:5], v[4:5], off
	s_waitcnt vmcnt(0)
	v_cmp_neq_f64_e32 vcc, 0, v[4:5]
	v_addc_co_u32_e32 v0, vcc, 0, v0, vcc
	v_mov_b32_e32 v7, v3
	v_mov_b32_e32 v6, v2
	v_mov_b32_e32 v5, v1
	v_mov_b32_e32 v4, v0
.LBB6_41:
	v_mov_b32_e32 v0, v4
	v_mov_b32_e32 v1, v5
	v_mov_b32_e32 v2, v6
	v_mov_b32_e32 v3, v7
.LBB6_42:
	s_or_b64 exec, exec, s[4:5]
	v_or_b32_e32 v20, 2, v8
	v_cmp_gt_i32_e32 vcc, s18, v20
	s_and_saveexec_b64 s[4:5], vcc
	s_cbranch_execz .LBB6_48
; %bb.43:
	s_andn2_b64 vcc, exec, s[0:1]
	s_cbranch_vccnz .LBB6_45
; %bb.44:
	global_load_dwordx2 v[4:5], v[12:13], off offset:16
	s_waitcnt vmcnt(0)
	v_cmp_neq_f64_e32 vcc, 0, v[4:5]
	v_mov_b32_e32 v7, v3
	v_mov_b32_e32 v4, v0
	v_mov_b32_e32 v6, v2
	v_mov_b32_e32 v5, v1
	v_addc_co_u32_e32 v21, vcc, 0, v0, vcc
	v_mov_b32_e32 v4, v21
	s_cbranch_execz .LBB6_46
	s_branch .LBB6_47
.LBB6_45:
                                        ; implicit-def: $vgpr4_vgpr5_vgpr6_vgpr7
.LBB6_46:
	v_mad_u64_u32 v[4:5], s[6:7], s22, v20, 0
	v_mad_u64_u32 v[5:6], s[6:7], s23, v20, v[5:6]
	v_lshlrev_b64 v[4:5], 3, v[4:5]
	v_add_co_u32_e32 v4, vcc, v18, v4
	v_addc_co_u32_e32 v5, vcc, v19, v5, vcc
	global_load_dwordx2 v[4:5], v[4:5], off
	s_waitcnt vmcnt(0)
	v_cmp_neq_f64_e32 vcc, 0, v[4:5]
	v_addc_co_u32_e32 v0, vcc, 0, v0, vcc
	v_mov_b32_e32 v7, v3
	v_mov_b32_e32 v6, v2
	v_mov_b32_e32 v5, v1
	v_mov_b32_e32 v4, v0
.LBB6_47:
	v_mov_b32_e32 v0, v4
	v_mov_b32_e32 v1, v5
	v_mov_b32_e32 v2, v6
	v_mov_b32_e32 v3, v7
.LBB6_48:
	;; [unrolled: 42-line block ×3, first 2 shown]
	s_or_b64 exec, exec, s[4:5]
.LBB6_55:
	s_or_b64 exec, exec, s[2:3]
	v_cmp_gt_i32_e32 vcc, s17, v16
	s_and_saveexec_b64 s[2:3], vcc
	s_cbranch_execz .LBB6_81
; %bb.56:
	v_ashrrev_i32_e32 v6, 31, v16
	v_mul_lo_u32 v7, s23, v16
	v_mad_u64_u32 v[4:5], s[4:5], s22, v16, 0
	v_mul_lo_u32 v6, s22, v6
	v_add3_u32 v5, v5, v6, v7
	v_lshlrev_b64 v[4:5], 3, v[4:5]
	v_mov_b32_e32 v6, s21
	v_add_co_u32_e32 v12, vcc, v9, v4
	v_addc_co_u32_e32 v13, vcc, v17, v5, vcc
	v_lshlrev_b64 v[4:5], 3, v[10:11]
	v_add_co_u32_e32 v16, vcc, s20, v4
	v_addc_co_u32_e32 v18, vcc, v6, v5, vcc
	v_cmp_gt_i32_e32 vcc, s18, v8
	s_and_saveexec_b64 s[4:5], vcc
	s_cbranch_execz .LBB6_62
; %bb.57:
	s_andn2_b64 vcc, exec, s[0:1]
	s_cbranch_vccnz .LBB6_59
; %bb.58:
	global_load_dwordx2 v[4:5], v[12:13], off
	s_waitcnt vmcnt(0)
	v_cmp_neq_f64_e32 vcc, 0, v[4:5]
	v_mov_b32_e32 v7, v3
	v_mov_b32_e32 v5, v1
	;; [unrolled: 1-line block ×4, first 2 shown]
	v_addc_co_u32_e32 v19, vcc, 0, v1, vcc
	v_mov_b32_e32 v5, v19
	s_cbranch_execz .LBB6_60
	s_branch .LBB6_61
.LBB6_59:
                                        ; implicit-def: $vgpr4_vgpr5_vgpr6_vgpr7
.LBB6_60:
	v_mad_u64_u32 v[4:5], s[6:7], s22, v8, 0
	v_mad_u64_u32 v[5:6], s[6:7], s23, v8, v[5:6]
	v_lshlrev_b64 v[4:5], 3, v[4:5]
	v_add_co_u32_e32 v4, vcc, v16, v4
	v_addc_co_u32_e32 v5, vcc, v18, v5, vcc
	global_load_dwordx2 v[4:5], v[4:5], off offset:512
	s_waitcnt vmcnt(0)
	v_cmp_neq_f64_e32 vcc, 0, v[4:5]
	v_addc_co_u32_e32 v1, vcc, 0, v1, vcc
	v_mov_b32_e32 v7, v3
	v_mov_b32_e32 v6, v2
	;; [unrolled: 1-line block ×4, first 2 shown]
.LBB6_61:
	v_mov_b32_e32 v0, v4
	v_mov_b32_e32 v1, v5
	;; [unrolled: 1-line block ×4, first 2 shown]
.LBB6_62:
	s_or_b64 exec, exec, s[4:5]
	v_or_b32_e32 v19, 1, v8
	v_cmp_gt_i32_e32 vcc, s18, v19
	s_and_saveexec_b64 s[4:5], vcc
	s_cbranch_execz .LBB6_68
; %bb.63:
	s_andn2_b64 vcc, exec, s[0:1]
	s_cbranch_vccnz .LBB6_65
; %bb.64:
	global_load_dwordx2 v[4:5], v[12:13], off offset:8
	s_waitcnt vmcnt(0)
	v_cmp_neq_f64_e32 vcc, 0, v[4:5]
	v_mov_b32_e32 v7, v3
	v_mov_b32_e32 v5, v1
	v_mov_b32_e32 v6, v2
	v_mov_b32_e32 v4, v0
	v_addc_co_u32_e32 v20, vcc, 0, v1, vcc
	v_mov_b32_e32 v5, v20
	s_cbranch_execz .LBB6_66
	s_branch .LBB6_67
.LBB6_65:
                                        ; implicit-def: $vgpr4_vgpr5_vgpr6_vgpr7
.LBB6_66:
	v_mad_u64_u32 v[4:5], s[6:7], s22, v19, 0
	v_mad_u64_u32 v[5:6], s[6:7], s23, v19, v[5:6]
	v_lshlrev_b64 v[4:5], 3, v[4:5]
	v_add_co_u32_e32 v4, vcc, v16, v4
	v_addc_co_u32_e32 v5, vcc, v18, v5, vcc
	global_load_dwordx2 v[4:5], v[4:5], off offset:512
	s_waitcnt vmcnt(0)
	v_cmp_neq_f64_e32 vcc, 0, v[4:5]
	v_addc_co_u32_e32 v1, vcc, 0, v1, vcc
	v_mov_b32_e32 v7, v3
	v_mov_b32_e32 v6, v2
	v_mov_b32_e32 v5, v1
	v_mov_b32_e32 v4, v0
.LBB6_67:
	v_mov_b32_e32 v0, v4
	v_mov_b32_e32 v1, v5
	v_mov_b32_e32 v2, v6
	v_mov_b32_e32 v3, v7
.LBB6_68:
	s_or_b64 exec, exec, s[4:5]
	v_or_b32_e32 v19, 2, v8
	v_cmp_gt_i32_e32 vcc, s18, v19
	s_and_saveexec_b64 s[4:5], vcc
	s_cbranch_execz .LBB6_74
; %bb.69:
	s_andn2_b64 vcc, exec, s[0:1]
	s_cbranch_vccnz .LBB6_71
; %bb.70:
	global_load_dwordx2 v[4:5], v[12:13], off offset:16
	s_waitcnt vmcnt(0)
	v_cmp_neq_f64_e32 vcc, 0, v[4:5]
	v_mov_b32_e32 v7, v3
	v_mov_b32_e32 v5, v1
	v_mov_b32_e32 v6, v2
	v_mov_b32_e32 v4, v0
	v_addc_co_u32_e32 v20, vcc, 0, v1, vcc
	v_mov_b32_e32 v5, v20
	s_cbranch_execz .LBB6_72
	s_branch .LBB6_73
.LBB6_71:
                                        ; implicit-def: $vgpr4_vgpr5_vgpr6_vgpr7
.LBB6_72:
	v_mad_u64_u32 v[4:5], s[6:7], s22, v19, 0
	v_mad_u64_u32 v[5:6], s[6:7], s23, v19, v[5:6]
	v_lshlrev_b64 v[4:5], 3, v[4:5]
	v_add_co_u32_e32 v4, vcc, v16, v4
	v_addc_co_u32_e32 v5, vcc, v18, v5, vcc
	global_load_dwordx2 v[4:5], v[4:5], off offset:512
	s_waitcnt vmcnt(0)
	v_cmp_neq_f64_e32 vcc, 0, v[4:5]
	v_addc_co_u32_e32 v1, vcc, 0, v1, vcc
	v_mov_b32_e32 v7, v3
	v_mov_b32_e32 v6, v2
	v_mov_b32_e32 v5, v1
	v_mov_b32_e32 v4, v0
.LBB6_73:
	v_mov_b32_e32 v0, v4
	v_mov_b32_e32 v1, v5
	v_mov_b32_e32 v2, v6
	v_mov_b32_e32 v3, v7
.LBB6_74:
	;; [unrolled: 42-line block ×3, first 2 shown]
	s_or_b64 exec, exec, s[4:5]
.LBB6_81:
	s_or_b64 exec, exec, s[2:3]
	v_or_b32_e32 v4, 0x80, v10
	v_cmp_gt_i32_e32 vcc, s17, v4
	s_and_saveexec_b64 s[2:3], vcc
	s_cbranch_execz .LBB6_107
; %bb.82:
	v_ashrrev_i32_e32 v6, 31, v4
	v_mul_lo_u32 v7, s23, v4
	v_mad_u64_u32 v[4:5], s[4:5], s22, v4, 0
	v_mul_lo_u32 v6, s22, v6
	v_add3_u32 v5, v5, v6, v7
	v_lshlrev_b64 v[4:5], 3, v[4:5]
	v_mov_b32_e32 v6, s21
	v_add_co_u32_e32 v12, vcc, v9, v4
	v_addc_co_u32_e32 v13, vcc, v17, v5, vcc
	v_lshlrev_b64 v[4:5], 3, v[10:11]
	v_add_co_u32_e32 v16, vcc, s20, v4
	v_addc_co_u32_e32 v18, vcc, v6, v5, vcc
	v_cmp_gt_i32_e32 vcc, s18, v8
	s_and_saveexec_b64 s[4:5], vcc
	s_cbranch_execz .LBB6_88
; %bb.83:
	s_andn2_b64 vcc, exec, s[0:1]
	s_cbranch_vccnz .LBB6_85
; %bb.84:
	global_load_dwordx2 v[4:5], v[12:13], off
	s_waitcnt vmcnt(0)
	v_cmp_neq_f64_e32 vcc, 0, v[4:5]
	v_mov_b32_e32 v7, v3
	v_mov_b32_e32 v6, v2
	;; [unrolled: 1-line block ×4, first 2 shown]
	v_addc_co_u32_e32 v19, vcc, 0, v2, vcc
	v_mov_b32_e32 v6, v19
	s_cbranch_execz .LBB6_86
	s_branch .LBB6_87
.LBB6_85:
                                        ; implicit-def: $vgpr4_vgpr5_vgpr6_vgpr7
.LBB6_86:
	v_mad_u64_u32 v[4:5], s[6:7], s22, v8, 0
	v_mad_u64_u32 v[5:6], s[6:7], s23, v8, v[5:6]
	v_lshlrev_b64 v[4:5], 3, v[4:5]
	v_add_co_u32_e32 v4, vcc, v16, v4
	v_addc_co_u32_e32 v5, vcc, v18, v5, vcc
	global_load_dwordx2 v[4:5], v[4:5], off offset:1024
	s_waitcnt vmcnt(0)
	v_cmp_neq_f64_e32 vcc, 0, v[4:5]
	v_addc_co_u32_e32 v2, vcc, 0, v2, vcc
	v_mov_b32_e32 v7, v3
	v_mov_b32_e32 v6, v2
	;; [unrolled: 1-line block ×4, first 2 shown]
.LBB6_87:
	v_mov_b32_e32 v0, v4
	v_mov_b32_e32 v1, v5
	;; [unrolled: 1-line block ×4, first 2 shown]
.LBB6_88:
	s_or_b64 exec, exec, s[4:5]
	v_or_b32_e32 v19, 1, v8
	v_cmp_gt_i32_e32 vcc, s18, v19
	s_and_saveexec_b64 s[4:5], vcc
	s_cbranch_execz .LBB6_94
; %bb.89:
	s_andn2_b64 vcc, exec, s[0:1]
	s_cbranch_vccnz .LBB6_91
; %bb.90:
	global_load_dwordx2 v[4:5], v[12:13], off offset:8
	s_waitcnt vmcnt(0)
	v_cmp_neq_f64_e32 vcc, 0, v[4:5]
	v_mov_b32_e32 v7, v3
	v_mov_b32_e32 v6, v2
	v_mov_b32_e32 v5, v1
	v_mov_b32_e32 v4, v0
	v_addc_co_u32_e32 v20, vcc, 0, v2, vcc
	v_mov_b32_e32 v6, v20
	s_cbranch_execz .LBB6_92
	s_branch .LBB6_93
.LBB6_91:
                                        ; implicit-def: $vgpr4_vgpr5_vgpr6_vgpr7
.LBB6_92:
	v_mad_u64_u32 v[4:5], s[6:7], s22, v19, 0
	v_mad_u64_u32 v[5:6], s[6:7], s23, v19, v[5:6]
	v_lshlrev_b64 v[4:5], 3, v[4:5]
	v_add_co_u32_e32 v4, vcc, v16, v4
	v_addc_co_u32_e32 v5, vcc, v18, v5, vcc
	global_load_dwordx2 v[4:5], v[4:5], off offset:1024
	s_waitcnt vmcnt(0)
	v_cmp_neq_f64_e32 vcc, 0, v[4:5]
	v_addc_co_u32_e32 v2, vcc, 0, v2, vcc
	v_mov_b32_e32 v7, v3
	v_mov_b32_e32 v6, v2
	v_mov_b32_e32 v5, v1
	v_mov_b32_e32 v4, v0
.LBB6_93:
	v_mov_b32_e32 v0, v4
	v_mov_b32_e32 v1, v5
	v_mov_b32_e32 v2, v6
	v_mov_b32_e32 v3, v7
.LBB6_94:
	s_or_b64 exec, exec, s[4:5]
	v_or_b32_e32 v19, 2, v8
	v_cmp_gt_i32_e32 vcc, s18, v19
	s_and_saveexec_b64 s[4:5], vcc
	s_cbranch_execz .LBB6_100
; %bb.95:
	s_andn2_b64 vcc, exec, s[0:1]
	s_cbranch_vccnz .LBB6_97
; %bb.96:
	global_load_dwordx2 v[4:5], v[12:13], off offset:16
	s_waitcnt vmcnt(0)
	v_cmp_neq_f64_e32 vcc, 0, v[4:5]
	v_mov_b32_e32 v7, v3
	v_mov_b32_e32 v6, v2
	v_mov_b32_e32 v5, v1
	v_mov_b32_e32 v4, v0
	v_addc_co_u32_e32 v20, vcc, 0, v2, vcc
	v_mov_b32_e32 v6, v20
	s_cbranch_execz .LBB6_98
	s_branch .LBB6_99
.LBB6_97:
                                        ; implicit-def: $vgpr4_vgpr5_vgpr6_vgpr7
.LBB6_98:
	v_mad_u64_u32 v[4:5], s[6:7], s22, v19, 0
	v_mad_u64_u32 v[5:6], s[6:7], s23, v19, v[5:6]
	v_lshlrev_b64 v[4:5], 3, v[4:5]
	v_add_co_u32_e32 v4, vcc, v16, v4
	v_addc_co_u32_e32 v5, vcc, v18, v5, vcc
	global_load_dwordx2 v[4:5], v[4:5], off offset:1024
	s_waitcnt vmcnt(0)
	v_cmp_neq_f64_e32 vcc, 0, v[4:5]
	v_addc_co_u32_e32 v2, vcc, 0, v2, vcc
	v_mov_b32_e32 v7, v3
	v_mov_b32_e32 v6, v2
	v_mov_b32_e32 v5, v1
	v_mov_b32_e32 v4, v0
.LBB6_99:
	v_mov_b32_e32 v0, v4
	v_mov_b32_e32 v1, v5
	v_mov_b32_e32 v2, v6
	v_mov_b32_e32 v3, v7
.LBB6_100:
	;; [unrolled: 42-line block ×3, first 2 shown]
	s_or_b64 exec, exec, s[4:5]
.LBB6_107:
	s_or_b64 exec, exec, s[2:3]
	v_or_b32_e32 v4, 0xc0, v10
	v_cmp_gt_i32_e32 vcc, s17, v4
	s_and_saveexec_b64 s[2:3], vcc
	s_cbranch_execz .LBB6_133
; %bb.108:
	v_ashrrev_i32_e32 v6, 31, v4
	v_mul_lo_u32 v7, s23, v4
	v_mad_u64_u32 v[4:5], s[4:5], s22, v4, 0
	v_mul_lo_u32 v6, s22, v6
	v_add3_u32 v5, v5, v6, v7
	v_lshlrev_b64 v[4:5], 3, v[4:5]
	v_mov_b32_e32 v6, s21
	v_add_co_u32_e32 v12, vcc, v9, v4
	v_addc_co_u32_e32 v13, vcc, v17, v5, vcc
	v_lshlrev_b64 v[4:5], 3, v[10:11]
	v_add_co_u32_e32 v9, vcc, s20, v4
	v_addc_co_u32_e32 v10, vcc, v6, v5, vcc
	v_cndmask_b32_e64 v4, 0, 1, s[0:1]
	v_cmp_gt_i32_e32 vcc, s18, v8
	v_cmp_ne_u32_e64 s[0:1], 1, v4
	s_and_saveexec_b64 s[4:5], vcc
	s_cbranch_execz .LBB6_114
; %bb.109:
	s_and_b64 vcc, exec, s[0:1]
	s_cbranch_vccnz .LBB6_111
; %bb.110:
	global_load_dwordx2 v[4:5], v[12:13], off
	s_waitcnt vmcnt(0)
	v_cmp_neq_f64_e32 vcc, 0, v[4:5]
	v_mov_b32_e32 v7, v3
	v_mov_b32_e32 v6, v2
	;; [unrolled: 1-line block ×4, first 2 shown]
	v_addc_co_u32_e32 v11, vcc, 0, v3, vcc
	v_mov_b32_e32 v7, v11
	s_cbranch_execz .LBB6_112
	s_branch .LBB6_113
.LBB6_111:
                                        ; implicit-def: $vgpr4_vgpr5_vgpr6_vgpr7
.LBB6_112:
	v_mad_u64_u32 v[4:5], s[6:7], s22, v8, 0
	v_mad_u64_u32 v[5:6], s[6:7], s23, v8, v[5:6]
	v_lshlrev_b64 v[4:5], 3, v[4:5]
	v_add_co_u32_e32 v4, vcc, v9, v4
	v_addc_co_u32_e32 v5, vcc, v10, v5, vcc
	global_load_dwordx2 v[4:5], v[4:5], off offset:1536
	s_waitcnt vmcnt(0)
	v_cmp_neq_f64_e32 vcc, 0, v[4:5]
	v_addc_co_u32_e32 v3, vcc, 0, v3, vcc
	v_mov_b32_e32 v7, v3
	v_mov_b32_e32 v6, v2
	;; [unrolled: 1-line block ×4, first 2 shown]
.LBB6_113:
	v_mov_b32_e32 v0, v4
	v_mov_b32_e32 v1, v5
	;; [unrolled: 1-line block ×4, first 2 shown]
.LBB6_114:
	s_or_b64 exec, exec, s[4:5]
	v_or_b32_e32 v11, 1, v8
	v_cmp_gt_i32_e32 vcc, s18, v11
	s_and_saveexec_b64 s[4:5], vcc
	s_cbranch_execz .LBB6_120
; %bb.115:
	s_and_b64 vcc, exec, s[0:1]
	s_cbranch_vccnz .LBB6_117
; %bb.116:
	global_load_dwordx2 v[4:5], v[12:13], off offset:8
	s_waitcnt vmcnt(0)
	v_cmp_neq_f64_e32 vcc, 0, v[4:5]
	v_mov_b32_e32 v7, v3
	v_mov_b32_e32 v6, v2
	v_mov_b32_e32 v5, v1
	v_mov_b32_e32 v4, v0
	v_addc_co_u32_e32 v16, vcc, 0, v3, vcc
	v_mov_b32_e32 v7, v16
	s_cbranch_execz .LBB6_118
	s_branch .LBB6_119
.LBB6_117:
                                        ; implicit-def: $vgpr4_vgpr5_vgpr6_vgpr7
.LBB6_118:
	v_mad_u64_u32 v[4:5], s[6:7], s22, v11, 0
	v_mad_u64_u32 v[5:6], s[6:7], s23, v11, v[5:6]
	v_lshlrev_b64 v[4:5], 3, v[4:5]
	v_add_co_u32_e32 v4, vcc, v9, v4
	v_addc_co_u32_e32 v5, vcc, v10, v5, vcc
	global_load_dwordx2 v[4:5], v[4:5], off offset:1536
	s_waitcnt vmcnt(0)
	v_cmp_neq_f64_e32 vcc, 0, v[4:5]
	v_addc_co_u32_e32 v3, vcc, 0, v3, vcc
	v_mov_b32_e32 v7, v3
	v_mov_b32_e32 v6, v2
	v_mov_b32_e32 v5, v1
	v_mov_b32_e32 v4, v0
.LBB6_119:
	v_mov_b32_e32 v0, v4
	v_mov_b32_e32 v1, v5
	v_mov_b32_e32 v2, v6
	v_mov_b32_e32 v3, v7
.LBB6_120:
	s_or_b64 exec, exec, s[4:5]
	v_or_b32_e32 v11, 2, v8
	v_cmp_gt_i32_e32 vcc, s18, v11
	s_and_saveexec_b64 s[4:5], vcc
	s_cbranch_execz .LBB6_126
; %bb.121:
	s_and_b64 vcc, exec, s[0:1]
	s_cbranch_vccnz .LBB6_123
; %bb.122:
	global_load_dwordx2 v[4:5], v[12:13], off offset:16
	s_waitcnt vmcnt(0)
	v_cmp_neq_f64_e32 vcc, 0, v[4:5]
	v_mov_b32_e32 v7, v3
	v_mov_b32_e32 v6, v2
	v_mov_b32_e32 v5, v1
	v_mov_b32_e32 v4, v0
	v_addc_co_u32_e32 v16, vcc, 0, v3, vcc
	v_mov_b32_e32 v7, v16
	s_cbranch_execz .LBB6_124
	s_branch .LBB6_125
.LBB6_123:
                                        ; implicit-def: $vgpr4_vgpr5_vgpr6_vgpr7
.LBB6_124:
	v_mad_u64_u32 v[4:5], s[6:7], s22, v11, 0
	v_mad_u64_u32 v[5:6], s[6:7], s23, v11, v[5:6]
	v_lshlrev_b64 v[4:5], 3, v[4:5]
	v_add_co_u32_e32 v4, vcc, v9, v4
	v_addc_co_u32_e32 v5, vcc, v10, v5, vcc
	global_load_dwordx2 v[4:5], v[4:5], off offset:1536
	s_waitcnt vmcnt(0)
	v_cmp_neq_f64_e32 vcc, 0, v[4:5]
	v_addc_co_u32_e32 v3, vcc, 0, v3, vcc
	v_mov_b32_e32 v7, v3
	v_mov_b32_e32 v6, v2
	v_mov_b32_e32 v5, v1
	v_mov_b32_e32 v4, v0
.LBB6_125:
	v_mov_b32_e32 v0, v4
	v_mov_b32_e32 v1, v5
	v_mov_b32_e32 v2, v6
	v_mov_b32_e32 v3, v7
.LBB6_126:
	;; [unrolled: 42-line block ×3, first 2 shown]
	s_or_b64 exec, exec, s[4:5]
.LBB6_133:
	s_or_b64 exec, exec, s[2:3]
.LBB6_134:
	v_lshlrev_b32_e32 v4, 4, v14
	v_lshlrev_b32_e32 v5, 2, v15
	s_mov_b32 s0, 0x7ffffc00
	v_and_or_b32 v4, v4, s0, v5
	s_movk_i32 s0, 0x100
	v_cmp_gt_u32_e32 vcc, s0, v14
	ds_write2st64_b32 v4, v0, v1 offset1:1
	ds_write2st64_b32 v4, v2, v3 offset0:2 offset1:3
	s_waitcnt lgkmcnt(0)
	s_barrier
	s_and_saveexec_b64 s[0:1], vcc
	s_cbranch_execz .LBB6_137
; %bb.135:
	v_lshlrev_b32_e32 v11, 2, v14
	ds_read2st64_b32 v[1:2], v11 offset1:4
	ds_read2st64_b32 v[3:4], v11 offset0:8 offset1:12
	ds_read2st64_b32 v[5:6], v11 offset0:16 offset1:20
	;; [unrolled: 1-line block ×3, first 2 shown]
	v_add_u32_e32 v0, s19, v14
	s_waitcnt lgkmcnt(3)
	v_add_u32_e32 v1, v1, v2
	s_waitcnt lgkmcnt(2)
	v_add3_u32 v1, v1, v3, v4
	s_waitcnt lgkmcnt(1)
	v_add3_u32 v12, v1, v5, v6
	ds_read2st64_b32 v[1:2], v11 offset0:32 offset1:36
	ds_read2st64_b32 v[3:4], v11 offset0:40 offset1:44
	;; [unrolled: 1-line block ×4, first 2 shown]
	s_waitcnt lgkmcnt(4)
	v_add3_u32 v7, v12, v7, v8
	s_waitcnt lgkmcnt(3)
	v_add3_u32 v1, v7, v1, v2
	;; [unrolled: 2-line block ×5, first 2 shown]
	v_cmp_gt_i32_e32 vcc, s17, v0
	ds_write_b32 v11, v2
	s_and_b64 exec, exec, vcc
	s_cbranch_execz .LBB6_137
; %bb.136:
	v_ashrrev_i32_e32 v1, 31, v0
	v_lshlrev_b64 v[0:1], 2, v[0:1]
	v_mov_b32_e32 v3, s25
	v_add_co_u32_e32 v0, vcc, s24, v0
	v_addc_co_u32_e32 v1, vcc, v3, v1, vcc
	global_store_dword v[0:1], v2, off
.LBB6_137:
	s_endpgm
	.section	.rodata,"a",@progbits
	.p2align	6, 0x0
	.amdhsa_kernel _ZN9rocsparseL14nnz_kernel_rowILi64ELi16EiidEEv16rocsparse_order_T2_S2_PKT3_lPT1_
		.amdhsa_group_segment_fixed_size 16384
		.amdhsa_private_segment_fixed_size 0
		.amdhsa_kernarg_size 296
		.amdhsa_user_sgpr_count 6
		.amdhsa_user_sgpr_private_segment_buffer 1
		.amdhsa_user_sgpr_dispatch_ptr 0
		.amdhsa_user_sgpr_queue_ptr 0
		.amdhsa_user_sgpr_kernarg_segment_ptr 1
		.amdhsa_user_sgpr_dispatch_id 0
		.amdhsa_user_sgpr_flat_scratch_init 0
		.amdhsa_user_sgpr_private_segment_size 0
		.amdhsa_uses_dynamic_stack 0
		.amdhsa_system_sgpr_private_segment_wavefront_offset 0
		.amdhsa_system_sgpr_workgroup_id_x 1
		.amdhsa_system_sgpr_workgroup_id_y 0
		.amdhsa_system_sgpr_workgroup_id_z 0
		.amdhsa_system_sgpr_workgroup_info 0
		.amdhsa_system_vgpr_workitem_id 1
		.amdhsa_next_free_vgpr 34
		.amdhsa_next_free_sgpr 61
		.amdhsa_reserve_vcc 1
		.amdhsa_reserve_flat_scratch 0
		.amdhsa_float_round_mode_32 0
		.amdhsa_float_round_mode_16_64 0
		.amdhsa_float_denorm_mode_32 3
		.amdhsa_float_denorm_mode_16_64 3
		.amdhsa_dx10_clamp 1
		.amdhsa_ieee_mode 1
		.amdhsa_fp16_overflow 0
		.amdhsa_exception_fp_ieee_invalid_op 0
		.amdhsa_exception_fp_denorm_src 0
		.amdhsa_exception_fp_ieee_div_zero 0
		.amdhsa_exception_fp_ieee_overflow 0
		.amdhsa_exception_fp_ieee_underflow 0
		.amdhsa_exception_fp_ieee_inexact 0
		.amdhsa_exception_int_div_zero 0
	.end_amdhsa_kernel
	.section	.text._ZN9rocsparseL14nnz_kernel_rowILi64ELi16EiidEEv16rocsparse_order_T2_S2_PKT3_lPT1_,"axG",@progbits,_ZN9rocsparseL14nnz_kernel_rowILi64ELi16EiidEEv16rocsparse_order_T2_S2_PKT3_lPT1_,comdat
.Lfunc_end6:
	.size	_ZN9rocsparseL14nnz_kernel_rowILi64ELi16EiidEEv16rocsparse_order_T2_S2_PKT3_lPT1_, .Lfunc_end6-_ZN9rocsparseL14nnz_kernel_rowILi64ELi16EiidEEv16rocsparse_order_T2_S2_PKT3_lPT1_
                                        ; -- End function
	.set _ZN9rocsparseL14nnz_kernel_rowILi64ELi16EiidEEv16rocsparse_order_T2_S2_PKT3_lPT1_.num_vgpr, 34
	.set _ZN9rocsparseL14nnz_kernel_rowILi64ELi16EiidEEv16rocsparse_order_T2_S2_PKT3_lPT1_.num_agpr, 0
	.set _ZN9rocsparseL14nnz_kernel_rowILi64ELi16EiidEEv16rocsparse_order_T2_S2_PKT3_lPT1_.numbered_sgpr, 38
	.set _ZN9rocsparseL14nnz_kernel_rowILi64ELi16EiidEEv16rocsparse_order_T2_S2_PKT3_lPT1_.num_named_barrier, 0
	.set _ZN9rocsparseL14nnz_kernel_rowILi64ELi16EiidEEv16rocsparse_order_T2_S2_PKT3_lPT1_.private_seg_size, 0
	.set _ZN9rocsparseL14nnz_kernel_rowILi64ELi16EiidEEv16rocsparse_order_T2_S2_PKT3_lPT1_.uses_vcc, 1
	.set _ZN9rocsparseL14nnz_kernel_rowILi64ELi16EiidEEv16rocsparse_order_T2_S2_PKT3_lPT1_.uses_flat_scratch, 0
	.set _ZN9rocsparseL14nnz_kernel_rowILi64ELi16EiidEEv16rocsparse_order_T2_S2_PKT3_lPT1_.has_dyn_sized_stack, 0
	.set _ZN9rocsparseL14nnz_kernel_rowILi64ELi16EiidEEv16rocsparse_order_T2_S2_PKT3_lPT1_.has_recursion, 0
	.set _ZN9rocsparseL14nnz_kernel_rowILi64ELi16EiidEEv16rocsparse_order_T2_S2_PKT3_lPT1_.has_indirect_call, 0
	.section	.AMDGPU.csdata,"",@progbits
; Kernel info:
; codeLenInByte = 5304
; TotalNumSgprs: 42
; NumVgprs: 34
; ScratchSize: 0
; MemoryBound: 0
; FloatMode: 240
; IeeeMode: 1
; LDSByteSize: 16384 bytes/workgroup (compile time only)
; SGPRBlocks: 8
; VGPRBlocks: 8
; NumSGPRsForWavesPerEU: 65
; NumVGPRsForWavesPerEU: 34
; Occupancy: 7
; WaveLimiterHint : 0
; COMPUTE_PGM_RSRC2:SCRATCH_EN: 0
; COMPUTE_PGM_RSRC2:USER_SGPR: 6
; COMPUTE_PGM_RSRC2:TRAP_HANDLER: 0
; COMPUTE_PGM_RSRC2:TGID_X_EN: 1
; COMPUTE_PGM_RSRC2:TGID_Y_EN: 0
; COMPUTE_PGM_RSRC2:TGID_Z_EN: 0
; COMPUTE_PGM_RSRC2:TIDIG_COMP_CNT: 1
	.section	.text._ZN9rocsparseL14nnz_kernel_colILi256EiidEEv16rocsparse_order_T1_S2_PKT2_lPT0_,"axG",@progbits,_ZN9rocsparseL14nnz_kernel_colILi256EiidEEv16rocsparse_order_T1_S2_PKT2_lPT0_,comdat
	.globl	_ZN9rocsparseL14nnz_kernel_colILi256EiidEEv16rocsparse_order_T1_S2_PKT2_lPT0_ ; -- Begin function _ZN9rocsparseL14nnz_kernel_colILi256EiidEEv16rocsparse_order_T1_S2_PKT2_lPT0_
	.p2align	8
	.type	_ZN9rocsparseL14nnz_kernel_colILi256EiidEEv16rocsparse_order_T1_S2_PKT2_lPT0_,@function
_ZN9rocsparseL14nnz_kernel_colILi256EiidEEv16rocsparse_order_T1_S2_PKT2_lPT0_: ; @_ZN9rocsparseL14nnz_kernel_colILi256EiidEEv16rocsparse_order_T1_S2_PKT2_lPT0_
; %bb.0:
	s_load_dwordx2 s[8:9], s[4:5], 0x0
	s_load_dwordx4 s[0:3], s[4:5], 0x10
	s_waitcnt lgkmcnt(0)
	s_ashr_i32 s7, s9, 31
	s_lshr_b32 s7, s7, 24
	s_add_i32 s7, s9, s7
	s_and_b32 s10, s7, 0xffffff00
	s_cmp_eq_u32 s8, 1
	s_cbranch_scc1 .LBB7_6
; %bb.1:
	s_cmpk_lt_i32 s9, 0x100
	v_mov_b32_e32 v5, 0
	s_cbranch_scc1 .LBB7_7
; %bb.2:
	v_mad_u64_u32 v[1:2], s[12:13], s2, v0, 0
	s_ashr_i32 s7, s6, 31
	v_mov_b32_e32 v5, 0
	v_mad_u64_u32 v[2:3], s[12:13], s3, v0, v[2:3]
	s_lshl_b64 s[12:13], s[6:7], 3
	s_add_u32 s7, s0, s12
	v_lshlrev_b64 v[1:2], 3, v[1:2]
	s_addc_u32 s8, s1, s13
	v_mov_b32_e32 v3, s8
	v_add_co_u32_e32 v1, vcc, s7, v1
	s_lshl_b64 s[12:13], s[2:3], 11
	v_addc_co_u32_e32 v2, vcc, v3, v2, vcc
	s_mov_b32 s7, 0
	v_mov_b32_e32 v3, s13
	s_branch .LBB7_4
.LBB7_3:                                ;   in Loop: Header=BB7_4 Depth=1
	s_or_b64 exec, exec, s[14:15]
	s_addk_i32 s7, 0x100
	v_add_co_u32_e32 v1, vcc, s12, v1
	s_cmp_ge_i32 s7, s10
	v_addc_co_u32_e32 v2, vcc, v2, v3, vcc
	s_cbranch_scc1 .LBB7_7
.LBB7_4:                                ; =>This Inner Loop Header: Depth=1
	v_add_u32_e32 v4, s7, v0
	v_cmp_gt_i32_e32 vcc, s9, v4
	s_and_saveexec_b64 s[14:15], vcc
	s_cbranch_execz .LBB7_3
; %bb.5:                                ;   in Loop: Header=BB7_4 Depth=1
	global_load_dwordx2 v[6:7], v[1:2], off
	s_waitcnt vmcnt(0)
	v_cmp_neq_f64_e32 vcc, 0, v[6:7]
	v_addc_co_u32_e32 v5, vcc, 0, v5, vcc
	s_branch .LBB7_3
.LBB7_6:
                                        ; implicit-def: $vgpr5
	s_load_dwordx2 s[4:5], s[4:5], 0x20
	s_cbranch_execnz .LBB7_10
	s_branch .LBB7_16
.LBB7_7:
	v_add_u32_e32 v1, s10, v0
	v_cmp_gt_i32_e32 vcc, s9, v1
	s_and_saveexec_b64 s[12:13], vcc
	s_cbranch_execz .LBB7_9
; %bb.8:
	v_ashrrev_i32_e32 v2, 31, v1
	v_mul_lo_u32 v3, s3, v1
	v_mul_lo_u32 v4, s2, v2
	v_mad_u64_u32 v[1:2], s[14:15], s2, v1, 0
	s_ashr_i32 s7, s6, 31
	s_lshl_b64 s[14:15], s[6:7], 3
	v_add3_u32 v2, v2, v4, v3
	v_lshlrev_b64 v[1:2], 3, v[1:2]
	v_mov_b32_e32 v3, s1
	v_add_co_u32_e32 v1, vcc, s0, v1
	v_addc_co_u32_e32 v2, vcc, v3, v2, vcc
	v_mov_b32_e32 v3, s15
	v_add_co_u32_e32 v1, vcc, s14, v1
	v_addc_co_u32_e32 v2, vcc, v2, v3, vcc
	global_load_dwordx2 v[1:2], v[1:2], off
	s_waitcnt vmcnt(0)
	v_cmp_neq_f64_e32 vcc, 0, v[1:2]
	v_addc_co_u32_e32 v5, vcc, 0, v5, vcc
.LBB7_9:
	s_or_b64 exec, exec, s[12:13]
	s_load_dwordx2 s[4:5], s[4:5], 0x20
	s_branch .LBB7_16
.LBB7_10:
	s_ashr_i32 s7, s6, 31
	s_mul_hi_u32 s8, s2, s6
	s_mul_i32 s7, s2, s7
	s_add_i32 s7, s8, s7
	s_mul_i32 s3, s3, s6
	s_add_i32 s3, s7, s3
	s_mul_i32 s2, s2, s6
	v_cmp_gt_i32_e32 vcc, s9, v0
	s_lshl_b64 s[2:3], s[2:3], 3
	v_cndmask_b32_e32 v1, 0, v0, vcc
	s_add_u32 s0, s0, s2
	s_addc_u32 s1, s1, s3
	v_lshlrev_b32_e32 v1, 3, v1
	v_mov_b32_e32 v2, s1
	v_add_co_u32_e32 v1, vcc, s0, v1
	v_mov_b32_e32 v5, 0
	s_cmpk_lt_i32 s9, 0x100
	v_addc_co_u32_e32 v2, vcc, 0, v2, vcc
	s_cbranch_scc1 .LBB7_13
; %bb.11:
	v_mov_b32_e32 v4, v2
	s_mov_b32 s0, 0
	v_mov_b32_e32 v5, 0
	v_mov_b32_e32 v3, v1
.LBB7_12:                               ; =>This Inner Loop Header: Depth=1
	global_load_dwordx2 v[6:7], v[3:4], off
	v_add_co_u32_e32 v3, vcc, 0x800, v3
	v_addc_co_u32_e32 v4, vcc, 0, v4, vcc
	s_addk_i32 s0, 0x100
	s_cmp_ge_i32 s0, s10
	s_waitcnt vmcnt(0)
	v_cmp_neq_f64_e32 vcc, 0, v[6:7]
	v_addc_co_u32_e32 v5, vcc, 0, v5, vcc
	s_cbranch_scc0 .LBB7_12
.LBB7_13:
	v_add_u32_e32 v3, s10, v0
	v_cmp_gt_i32_e32 vcc, s9, v3
	s_and_saveexec_b64 s[0:1], vcc
	s_cbranch_execz .LBB7_15
; %bb.14:
	s_ashr_i32 s11, s10, 31
	s_lshl_b64 s[2:3], s[10:11], 3
	v_mov_b32_e32 v3, s3
	v_add_co_u32_e32 v1, vcc, s2, v1
	v_addc_co_u32_e32 v2, vcc, v2, v3, vcc
	global_load_dwordx2 v[1:2], v[1:2], off
	s_waitcnt vmcnt(0)
	v_cmp_neq_f64_e32 vcc, 0, v[1:2]
	v_addc_co_u32_e32 v5, vcc, 0, v5, vcc
.LBB7_15:
	s_or_b64 exec, exec, s[0:1]
.LBB7_16:
	v_lshlrev_b32_e32 v1, 2, v0
	s_cmpk_lt_i32 s9, 0x100
	s_mov_b64 s[0:1], -1
	v_cmp_eq_u32_e32 vcc, 0, v0
	ds_write_b32 v1, v5
	s_waitcnt lgkmcnt(0)
	s_cbranch_scc1 .LBB7_20
; %bb.17:
	s_and_b64 vcc, exec, s[0:1]
	s_cbranch_vccnz .LBB7_30
.LBB7_18:
	v_cmp_eq_u32_e32 vcc, 0, v0
	s_and_saveexec_b64 s[0:1], vcc
	s_cbranch_execnz .LBB7_47
.LBB7_19:
	s_endpgm
.LBB7_20:
	s_cmp_gt_i32 s9, 1
	s_cselect_b64 s[0:1], -1, 0
	s_mov_b32 s3, 1
	s_and_b64 s[10:11], vcc, s[0:1]
	s_barrier
	s_and_saveexec_b64 s[0:1], s[10:11]
	s_cbranch_execz .LBB7_29
; %bb.21:
	v_mov_b32_e32 v2, 0
	ds_read_b32 v2, v2
	s_add_i32 s2, s9, -1
	s_add_i32 s7, s9, -2
	s_cmp_lt_u32 s7, 7
	s_cbranch_scc1 .LBB7_25
; %bb.22:
	s_and_b32 s3, s2, -8
	s_mov_b32 s8, 0
	s_mov_b32 s7, 4
.LBB7_23:                               ; =>This Inner Loop Header: Depth=1
	v_mov_b32_e32 v9, s7
	ds_read2_b32 v[3:4], v9 offset1:1
	ds_read2_b32 v[5:6], v9 offset0:2 offset1:3
	ds_read2_b32 v[7:8], v9 offset0:4 offset1:5
	ds_read2_b32 v[9:10], v9 offset0:6 offset1:7
	s_mov_b32 s9, s8
	s_waitcnt lgkmcnt(3)
	v_add_u32_e32 v2, v2, v3
	v_add_u32_e32 v2, v2, v4
	s_waitcnt lgkmcnt(2)
	v_add_u32_e32 v2, v2, v5
	v_add_u32_e32 v2, v2, v6
	;; [unrolled: 3-line block ×3, first 2 shown]
	s_add_i32 s7, s7, 32
	s_add_i32 s8, s8, 8
	s_waitcnt lgkmcnt(0)
	v_add_u32_e32 v2, v2, v9
	s_cmp_lg_u32 s3, s8
	v_add_u32_e32 v2, v2, v10
	s_cbranch_scc1 .LBB7_23
; %bb.24:
	s_add_i32 s3, s9, 9
.LBB7_25:
	s_and_b32 s2, s2, 7
	s_cmp_eq_u32 s2, 0
	s_cbranch_scc1 .LBB7_28
; %bb.26:
	s_lshl_b32 s3, s3, 2
.LBB7_27:                               ; =>This Inner Loop Header: Depth=1
	v_mov_b32_e32 v3, s3
	ds_read_b32 v3, v3
	s_add_i32 s3, s3, 4
	s_add_i32 s2, s2, -1
	s_cmp_lg_u32 s2, 0
	s_waitcnt lgkmcnt(0)
	v_add_u32_e32 v2, v2, v3
	s_cbranch_scc1 .LBB7_27
.LBB7_28:
	v_mov_b32_e32 v3, 0
	s_waitcnt lgkmcnt(0)
	ds_write_b32 v3, v2
.LBB7_29:
	s_or_b64 exec, exec, s[0:1]
	s_waitcnt lgkmcnt(0)
	s_barrier
	s_branch .LBB7_18
.LBB7_30:
	s_movk_i32 s0, 0x80
	v_cmp_gt_u32_e32 vcc, s0, v0
	s_barrier
	s_and_saveexec_b64 s[0:1], vcc
	s_cbranch_execz .LBB7_32
; %bb.31:
	ds_read2st64_b32 v[2:3], v1 offset1:2
	s_waitcnt lgkmcnt(0)
	v_add_u32_e32 v2, v2, v3
	ds_write_b32 v1, v2
.LBB7_32:
	s_or_b64 exec, exec, s[0:1]
	v_cmp_gt_u32_e32 vcc, 64, v0
	s_waitcnt lgkmcnt(0)
	s_barrier
	s_and_saveexec_b64 s[0:1], vcc
	s_cbranch_execz .LBB7_34
; %bb.33:
	ds_read2st64_b32 v[2:3], v1 offset1:1
	s_waitcnt lgkmcnt(0)
	v_add_u32_e32 v2, v2, v3
	ds_write_b32 v1, v2
.LBB7_34:
	s_or_b64 exec, exec, s[0:1]
	v_cmp_gt_u32_e32 vcc, 32, v0
	s_waitcnt lgkmcnt(0)
	s_barrier
	s_and_saveexec_b64 s[0:1], vcc
	s_cbranch_execz .LBB7_36
; %bb.35:
	ds_read2_b32 v[2:3], v1 offset1:32
	s_waitcnt lgkmcnt(0)
	v_add_u32_e32 v2, v2, v3
	ds_write_b32 v1, v2
.LBB7_36:
	s_or_b64 exec, exec, s[0:1]
	v_cmp_gt_u32_e32 vcc, 16, v0
	s_waitcnt lgkmcnt(0)
	s_barrier
	s_and_saveexec_b64 s[0:1], vcc
	s_cbranch_execz .LBB7_38
; %bb.37:
	ds_read2_b32 v[2:3], v1 offset1:16
	s_waitcnt lgkmcnt(0)
	v_add_u32_e32 v2, v2, v3
	ds_write_b32 v1, v2
.LBB7_38:
	;; [unrolled: 12-line block ×5, first 2 shown]
	s_or_b64 exec, exec, s[0:1]
	v_cmp_eq_u32_e32 vcc, 0, v0
	s_waitcnt lgkmcnt(0)
	s_barrier
	s_and_saveexec_b64 s[0:1], vcc
	s_cbranch_execz .LBB7_46
; %bb.45:
	v_mov_b32_e32 v3, 0
	ds_read_b64 v[1:2], v3
	s_waitcnt lgkmcnt(0)
	v_add_u32_e32 v1, v1, v2
	ds_write_b32 v3, v1
.LBB7_46:
	s_or_b64 exec, exec, s[0:1]
	s_waitcnt lgkmcnt(0)
	s_barrier
	v_cmp_eq_u32_e32 vcc, 0, v0
	s_and_saveexec_b64 s[0:1], vcc
	s_cbranch_execz .LBB7_19
.LBB7_47:
	v_mov_b32_e32 v0, 0
	ds_read_b32 v1, v0
	s_ashr_i32 s7, s6, 31
	s_lshl_b64 s[0:1], s[6:7], 2
	s_add_u32 s0, s4, s0
	s_addc_u32 s1, s5, s1
	s_waitcnt lgkmcnt(0)
	global_store_dword v0, v1, s[0:1]
	s_endpgm
	.section	.rodata,"a",@progbits
	.p2align	6, 0x0
	.amdhsa_kernel _ZN9rocsparseL14nnz_kernel_colILi256EiidEEv16rocsparse_order_T1_S2_PKT2_lPT0_
		.amdhsa_group_segment_fixed_size 1024
		.amdhsa_private_segment_fixed_size 0
		.amdhsa_kernarg_size 40
		.amdhsa_user_sgpr_count 6
		.amdhsa_user_sgpr_private_segment_buffer 1
		.amdhsa_user_sgpr_dispatch_ptr 0
		.amdhsa_user_sgpr_queue_ptr 0
		.amdhsa_user_sgpr_kernarg_segment_ptr 1
		.amdhsa_user_sgpr_dispatch_id 0
		.amdhsa_user_sgpr_flat_scratch_init 0
		.amdhsa_user_sgpr_private_segment_size 0
		.amdhsa_uses_dynamic_stack 0
		.amdhsa_system_sgpr_private_segment_wavefront_offset 0
		.amdhsa_system_sgpr_workgroup_id_x 1
		.amdhsa_system_sgpr_workgroup_id_y 0
		.amdhsa_system_sgpr_workgroup_id_z 0
		.amdhsa_system_sgpr_workgroup_info 0
		.amdhsa_system_vgpr_workitem_id 0
		.amdhsa_next_free_vgpr 11
		.amdhsa_next_free_sgpr 16
		.amdhsa_reserve_vcc 1
		.amdhsa_reserve_flat_scratch 0
		.amdhsa_float_round_mode_32 0
		.amdhsa_float_round_mode_16_64 0
		.amdhsa_float_denorm_mode_32 3
		.amdhsa_float_denorm_mode_16_64 3
		.amdhsa_dx10_clamp 1
		.amdhsa_ieee_mode 1
		.amdhsa_fp16_overflow 0
		.amdhsa_exception_fp_ieee_invalid_op 0
		.amdhsa_exception_fp_denorm_src 0
		.amdhsa_exception_fp_ieee_div_zero 0
		.amdhsa_exception_fp_ieee_overflow 0
		.amdhsa_exception_fp_ieee_underflow 0
		.amdhsa_exception_fp_ieee_inexact 0
		.amdhsa_exception_int_div_zero 0
	.end_amdhsa_kernel
	.section	.text._ZN9rocsparseL14nnz_kernel_colILi256EiidEEv16rocsparse_order_T1_S2_PKT2_lPT0_,"axG",@progbits,_ZN9rocsparseL14nnz_kernel_colILi256EiidEEv16rocsparse_order_T1_S2_PKT2_lPT0_,comdat
.Lfunc_end7:
	.size	_ZN9rocsparseL14nnz_kernel_colILi256EiidEEv16rocsparse_order_T1_S2_PKT2_lPT0_, .Lfunc_end7-_ZN9rocsparseL14nnz_kernel_colILi256EiidEEv16rocsparse_order_T1_S2_PKT2_lPT0_
                                        ; -- End function
	.set _ZN9rocsparseL14nnz_kernel_colILi256EiidEEv16rocsparse_order_T1_S2_PKT2_lPT0_.num_vgpr, 11
	.set _ZN9rocsparseL14nnz_kernel_colILi256EiidEEv16rocsparse_order_T1_S2_PKT2_lPT0_.num_agpr, 0
	.set _ZN9rocsparseL14nnz_kernel_colILi256EiidEEv16rocsparse_order_T1_S2_PKT2_lPT0_.numbered_sgpr, 16
	.set _ZN9rocsparseL14nnz_kernel_colILi256EiidEEv16rocsparse_order_T1_S2_PKT2_lPT0_.num_named_barrier, 0
	.set _ZN9rocsparseL14nnz_kernel_colILi256EiidEEv16rocsparse_order_T1_S2_PKT2_lPT0_.private_seg_size, 0
	.set _ZN9rocsparseL14nnz_kernel_colILi256EiidEEv16rocsparse_order_T1_S2_PKT2_lPT0_.uses_vcc, 1
	.set _ZN9rocsparseL14nnz_kernel_colILi256EiidEEv16rocsparse_order_T1_S2_PKT2_lPT0_.uses_flat_scratch, 0
	.set _ZN9rocsparseL14nnz_kernel_colILi256EiidEEv16rocsparse_order_T1_S2_PKT2_lPT0_.has_dyn_sized_stack, 0
	.set _ZN9rocsparseL14nnz_kernel_colILi256EiidEEv16rocsparse_order_T1_S2_PKT2_lPT0_.has_recursion, 0
	.set _ZN9rocsparseL14nnz_kernel_colILi256EiidEEv16rocsparse_order_T1_S2_PKT2_lPT0_.has_indirect_call, 0
	.section	.AMDGPU.csdata,"",@progbits
; Kernel info:
; codeLenInByte = 1304
; TotalNumSgprs: 20
; NumVgprs: 11
; ScratchSize: 0
; MemoryBound: 0
; FloatMode: 240
; IeeeMode: 1
; LDSByteSize: 1024 bytes/workgroup (compile time only)
; SGPRBlocks: 2
; VGPRBlocks: 2
; NumSGPRsForWavesPerEU: 20
; NumVGPRsForWavesPerEU: 11
; Occupancy: 10
; WaveLimiterHint : 0
; COMPUTE_PGM_RSRC2:SCRATCH_EN: 0
; COMPUTE_PGM_RSRC2:USER_SGPR: 6
; COMPUTE_PGM_RSRC2:TRAP_HANDLER: 0
; COMPUTE_PGM_RSRC2:TGID_X_EN: 1
; COMPUTE_PGM_RSRC2:TGID_Y_EN: 0
; COMPUTE_PGM_RSRC2:TGID_Z_EN: 0
; COMPUTE_PGM_RSRC2:TIDIG_COMP_CNT: 0
	.section	.text._ZN9rocsparseL14nnz_kernel_rowILi64ELi16Eii21rocsparse_complex_numIfEEEv16rocsparse_order_T2_S4_PKT3_lPT1_,"axG",@progbits,_ZN9rocsparseL14nnz_kernel_rowILi64ELi16Eii21rocsparse_complex_numIfEEEv16rocsparse_order_T2_S4_PKT3_lPT1_,comdat
	.globl	_ZN9rocsparseL14nnz_kernel_rowILi64ELi16Eii21rocsparse_complex_numIfEEEv16rocsparse_order_T2_S4_PKT3_lPT1_ ; -- Begin function _ZN9rocsparseL14nnz_kernel_rowILi64ELi16Eii21rocsparse_complex_numIfEEEv16rocsparse_order_T2_S4_PKT3_lPT1_
	.p2align	8
	.type	_ZN9rocsparseL14nnz_kernel_rowILi64ELi16Eii21rocsparse_complex_numIfEEEv16rocsparse_order_T2_S4_PKT3_lPT1_,@function
_ZN9rocsparseL14nnz_kernel_rowILi64ELi16Eii21rocsparse_complex_numIfEEEv16rocsparse_order_T2_S4_PKT3_lPT1_: ; @_ZN9rocsparseL14nnz_kernel_rowILi64ELi16Eii21rocsparse_complex_numIfEEEv16rocsparse_order_T2_S4_PKT3_lPT1_
; %bb.0:
	s_load_dword s0, s[4:5], 0x34
	s_load_dwordx2 s[34:35], s[4:5], 0x20
	s_load_dwordx8 s[24:31], s[4:5], 0x0
	s_waitcnt lgkmcnt(0)
	s_lshl_b32 s27, s6, 8
	s_and_b32 s0, s0, 0xffff
	v_mad_u32_u24 v14, v1, s0, v0
	s_ashr_i32 s0, s26, 31
	s_lshr_b32 s0, s0, 26
	v_and_b32_e32 v15, 63, v14
	s_add_i32 s33, s26, s0
	v_lshrrev_b32_e32 v0, 4, v14
	v_or_b32_e32 v10, s27, v15
	s_andn2_b32 s33, s33, 63
	v_and_b32_e32 v8, 0x7ffffc, v0
	v_mov_b32_e32 v0, 0
	v_cmp_gt_i32_e32 vcc, s33, v8
	v_mov_b32_e32 v1, v0
	v_mov_b32_e32 v2, v0
	;; [unrolled: 1-line block ×3, first 2 shown]
	v_or_b32_e32 v16, 64, v10
	s_and_saveexec_b64 s[36:37], vcc
	s_cbranch_execz .LBB8_28
; %bb.1:
	v_lshrrev_b32_e32 v29, 6, v14
	v_add_u32_e32 v1, s27, v15
	v_lshlrev_b32_e32 v21, 2, v29
	v_ashrrev_i32_e32 v2, 31, v1
	v_or_b32_e32 v11, 3, v21
	v_mul_lo_u32 v7, s30, v2
	v_mul_lo_u32 v9, s31, v1
	v_mad_u64_u32 v[3:4], s[0:1], s30, v1, 0
	v_mad_u64_u32 v[5:6], s[0:1], s30, v11, 0
	v_add3_u32 v4, v4, v7, v9
	v_lshlrev_b64 v[3:4], 3, v[3:4]
	v_mad_u64_u32 v[6:7], s[0:1], s31, v11, v[6:7]
	v_or_b32_e32 v11, 2, v21
	v_mad_u64_u32 v[19:20], s[0:1], s30, v11, 0
	v_add_u32_e32 v7, 64, v1
	v_ashrrev_i32_e32 v9, 31, v7
	v_mul_lo_u32 v25, s31, v7
	v_mad_u64_u32 v[17:18], s[0:1], s30, v7, 0
	v_mov_b32_e32 v7, v20
	v_mad_u64_u32 v[11:12], s[0:1], s31, v11, v[7:8]
	v_mov_b32_e32 v12, s30
	v_mov_b32_e32 v13, s31
	v_mad_u64_u32 v[23:24], s[0:1], s30, v21, v[12:13]
	v_add_u32_e32 v20, 0x80, v1
	v_ashrrev_i32_e32 v7, 31, v20
	v_mul_lo_u32 v26, s30, v7
	v_mov_b32_e32 v7, v24
	v_mul_lo_u32 v27, s31, v20
	v_mad_u64_u32 v[12:13], s[0:1], s31, v21, v[7:8]
	v_mad_u64_u32 v[21:22], s[0:1], s30, v20, 0
	v_mul_lo_u32 v9, s30, v9
	v_add_u32_e32 v7, 0xc0, v1
	v_add3_u32 v22, v22, v26, v27
	v_mad_u64_u32 v[27:28], s[0:1], s30, v29, 0
	v_add3_u32 v18, v18, v9, v25
	v_ashrrev_i32_e32 v9, 31, v7
	v_mul_lo_u32 v9, s30, v9
	v_mul_lo_u32 v13, s31, v7
	v_mad_u64_u32 v[25:26], s[0:1], s30, v7, 0
	v_mov_b32_e32 v7, v28
	v_mov_b32_e32 v20, v11
	;; [unrolled: 1-line block ×3, first 2 shown]
	v_mad_u64_u32 v[11:12], s[0:1], s31, v29, v[7:8]
	v_or_b32_e32 v7, 0x80, v10
	v_cmp_gt_i32_e64 s[0:1], s25, v7
	v_or_b32_e32 v7, 0xc0, v10
	v_cmp_gt_i32_e64 s[2:3], s25, v7
	v_lshlrev_b32_e32 v7, 5, v29
	v_add3_u32 v26, v26, v9, v13
	v_add_co_u32_e32 v9, vcc, v3, v7
	v_mov_b32_e32 v28, v11
	v_addc_co_u32_e32 v11, vcc, 0, v4, vcc
	v_lshlrev_b64 v[3:4], 3, v[5:6]
	v_lshlrev_b64 v[1:2], 3, v[1:2]
	s_cmp_lg_u32 s24, 1
	v_add_co_u32_e32 v12, vcc, v3, v1
	v_addc_co_u32_e32 v13, vcc, v4, v2, vcc
	v_lshlrev_b64 v[3:4], 3, v[17:18]
	s_cselect_b64 s[38:39], -1, 0
	v_add_co_u32_e32 v17, vcc, v3, v7
	v_addc_co_u32_e32 v18, vcc, 0, v4, vcc
	v_lshlrev_b64 v[3:4], 3, v[19:20]
	v_cmp_gt_i32_e64 s[4:5], s25, v10
	v_add_co_u32_e32 v19, vcc, v3, v1
	v_addc_co_u32_e32 v20, vcc, v4, v2, vcc
	v_lshlrev_b64 v[3:4], 3, v[21:22]
	v_cmp_gt_i32_e64 s[6:7], s25, v16
	v_add_co_u32_e32 v21, vcc, v3, v7
	v_addc_co_u32_e32 v22, vcc, 0, v4, vcc
	v_lshlrev_b64 v[3:4], 3, v[23:24]
	s_lshl_b64 s[40:41], s[30:31], 9
	v_add_co_u32_e32 v23, vcc, v3, v1
	v_addc_co_u32_e32 v24, vcc, v4, v2, vcc
	v_lshlrev_b64 v[3:4], 3, v[25:26]
	s_mov_b64 s[42:43], 0
	v_add_co_u32_e32 v25, vcc, v3, v7
	v_addc_co_u32_e32 v26, vcc, 0, v4, vcc
	v_lshlrev_b64 v[3:4], 5, v[27:28]
	v_add_co_u32_e32 v27, vcc, v3, v1
	v_addc_co_u32_e32 v28, vcc, v4, v2, vcc
	v_mov_b32_e32 v1, v0
	v_mov_b32_e32 v2, v0
	;; [unrolled: 1-line block ×3, first 2 shown]
	s_branch .LBB8_4
.LBB8_2:                                ;   in Loop: Header=BB8_4 Depth=1
	v_mov_b32_e32 v0, v4
	v_mov_b32_e32 v1, v5
	;; [unrolled: 1-line block ×4, first 2 shown]
.LBB8_3:                                ;   in Loop: Header=BB8_4 Depth=1
	s_or_b64 exec, exec, s[22:23]
	v_add_co_u32_e32 v9, vcc, 0x200, v9
	v_addc_co_u32_e32 v11, vcc, 0, v11, vcc
	v_mov_b32_e32 v4, s41
	v_add_co_u32_e32 v12, vcc, s40, v12
	v_addc_co_u32_e32 v13, vcc, v13, v4, vcc
	v_add_co_u32_e32 v17, vcc, 0x200, v17
	v_addc_co_u32_e32 v18, vcc, 0, v18, vcc
	;; [unrolled: 2-line block ×5, first 2 shown]
	v_add_co_u32_e32 v25, vcc, 0x200, v25
	v_add_u32_e32 v8, 64, v8
	v_addc_co_u32_e32 v26, vcc, 0, v26, vcc
	v_cmp_le_i32_e32 vcc, s33, v8
	s_or_b64 s[42:43], vcc, s[42:43]
	v_add_co_u32_e32 v27, vcc, s40, v27
	v_addc_co_u32_e32 v28, vcc, v28, v4, vcc
	s_andn2_b64 exec, exec, s[42:43]
	s_cbranch_execz .LBB8_27
.LBB8_4:                                ; =>This Inner Loop Header: Depth=1
	v_cndmask_b32_e64 v4, 0, 1, s[38:39]
	v_cmp_ne_u32_e64 s[8:9], 1, v4
	s_and_saveexec_b64 s[44:45], s[4:5]
	s_cbranch_execnz .LBB8_8
; %bb.5:                                ;   in Loop: Header=BB8_4 Depth=1
	s_or_b64 exec, exec, s[44:45]
	s_and_saveexec_b64 s[44:45], s[6:7]
	s_cbranch_execnz .LBB8_13
.LBB8_6:                                ;   in Loop: Header=BB8_4 Depth=1
	s_or_b64 exec, exec, s[44:45]
	s_and_saveexec_b64 s[44:45], s[0:1]
	s_cbranch_execnz .LBB8_18
.LBB8_7:                                ;   in Loop: Header=BB8_4 Depth=1
	s_or_b64 exec, exec, s[44:45]
	s_and_saveexec_b64 s[22:23], s[2:3]
	s_cbranch_execz .LBB8_3
	s_branch .LBB8_23
.LBB8_8:                                ;   in Loop: Header=BB8_4 Depth=1
	s_mov_b64 s[10:11], -1
	s_and_b64 vcc, exec, s[8:9]
	v_add_u32_e32 v29, 1, v0
                                        ; implicit-def: $vgpr4_vgpr5_vgpr6_vgpr7
	s_cbranch_vccnz .LBB8_10
; %bb.9:                                ;   in Loop: Header=BB8_4 Depth=1
	v_add_co_u32_e32 v30, vcc, s28, v9
	v_mov_b32_e32 v4, s29
	v_addc_co_u32_e32 v31, vcc, v4, v11, vcc
	global_load_dwordx4 v[4:7], v[30:31], off offset:16
	s_nop 0
	global_load_dwordx4 v[30:33], v[30:31], off
	s_waitcnt vmcnt(0)
	v_cmp_neq_f32_e32 vcc, 0, v30
	v_cmp_neq_f32_e64 s[10:11], 0, v31
	s_or_b64 vcc, vcc, s[10:11]
	v_cndmask_b32_e32 v30, v0, v29, vcc
	v_cmp_neq_f32_e32 vcc, 0, v32
	v_cmp_neq_f32_e64 s[10:11], 0, v33
	s_or_b64 vcc, vcc, s[10:11]
	v_add_u32_e32 v31, 1, v30
	v_cndmask_b32_e32 v30, v30, v31, vcc
	v_cmp_neq_f32_e32 vcc, 0, v4
	v_cmp_neq_f32_e64 s[10:11], 0, v5
	s_or_b64 vcc, vcc, s[10:11]
	v_add_u32_e32 v4, 1, v30
	v_cndmask_b32_e32 v4, v30, v4, vcc
	v_cmp_neq_f32_e32 vcc, 0, v6
	v_cmp_neq_f32_e64 s[10:11], 0, v7
	s_or_b64 vcc, vcc, s[10:11]
	v_add_u32_e32 v5, 1, v4
	v_cndmask_b32_e32 v4, v4, v5, vcc
	v_mov_b32_e32 v5, v1
	v_mov_b32_e32 v6, v2
	;; [unrolled: 1-line block ×3, first 2 shown]
	s_mov_b64 s[10:11], 0
.LBB8_10:                               ;   in Loop: Header=BB8_4 Depth=1
	s_andn2_b64 vcc, exec, s[10:11]
	s_cbranch_vccnz .LBB8_12
; %bb.11:                               ;   in Loop: Header=BB8_4 Depth=1
	v_mov_b32_e32 v5, s29
	v_add_co_u32_e32 v4, vcc, s28, v27
	v_addc_co_u32_e32 v5, vcc, v5, v28, vcc
	v_mov_b32_e32 v7, s29
	v_add_co_u32_e32 v6, vcc, s28, v23
	v_addc_co_u32_e32 v7, vcc, v7, v24, vcc
	;; [unrolled: 3-line block ×3, first 2 shown]
	global_load_dwordx2 v[4:5], v[4:5], off
	s_nop 0
	global_load_dwordx2 v[6:7], v[6:7], off
	s_nop 0
	global_load_dwordx2 v[30:31], v[30:31], off
	v_mov_b32_e32 v33, s29
	v_add_co_u32_e32 v32, vcc, s28, v12
	v_addc_co_u32_e32 v33, vcc, v33, v13, vcc
	global_load_dwordx2 v[32:33], v[32:33], off
	s_waitcnt vmcnt(3)
	v_cmp_neq_f32_e32 vcc, 0, v4
	v_cmp_neq_f32_e64 s[10:11], 0, v5
	s_or_b64 vcc, vcc, s[10:11]
	s_waitcnt vmcnt(2)
	v_cmp_neq_f32_e64 s[12:13], 0, v6
	v_cmp_neq_f32_e64 s[14:15], 0, v7
	v_cndmask_b32_e32 v0, v0, v29, vcc
	v_add_u32_e32 v4, 1, v0
	s_or_b64 vcc, s[12:13], s[14:15]
	s_waitcnt vmcnt(1)
	v_cmp_neq_f32_e64 s[16:17], 0, v30
	v_cmp_neq_f32_e64 s[18:19], 0, v31
	v_cndmask_b32_e32 v0, v0, v4, vcc
	v_add_u32_e32 v4, 1, v0
	s_or_b64 vcc, s[16:17], s[18:19]
	s_waitcnt vmcnt(0)
	v_cmp_neq_f32_e64 s[20:21], 0, v32
	v_cmp_neq_f32_e64 s[22:23], 0, v33
	v_cndmask_b32_e32 v0, v0, v4, vcc
	v_add_u32_e32 v4, 1, v0
	s_or_b64 vcc, s[20:21], s[22:23]
	v_cndmask_b32_e32 v0, v0, v4, vcc
	v_mov_b32_e32 v7, v3
	v_mov_b32_e32 v6, v2
	;; [unrolled: 1-line block ×4, first 2 shown]
.LBB8_12:                               ;   in Loop: Header=BB8_4 Depth=1
	v_mov_b32_e32 v0, v4
	v_mov_b32_e32 v1, v5
	;; [unrolled: 1-line block ×4, first 2 shown]
	s_or_b64 exec, exec, s[44:45]
	s_and_saveexec_b64 s[44:45], s[6:7]
	s_cbranch_execz .LBB8_6
.LBB8_13:                               ;   in Loop: Header=BB8_4 Depth=1
	s_mov_b64 s[10:11], -1
	s_and_b64 vcc, exec, s[8:9]
	v_add_u32_e32 v29, 1, v1
                                        ; implicit-def: $vgpr4_vgpr5_vgpr6_vgpr7
	s_cbranch_vccnz .LBB8_15
; %bb.14:                               ;   in Loop: Header=BB8_4 Depth=1
	v_add_co_u32_e32 v30, vcc, s28, v17
	v_mov_b32_e32 v4, s29
	v_addc_co_u32_e32 v31, vcc, v4, v18, vcc
	global_load_dwordx4 v[4:7], v[30:31], off offset:16
	s_nop 0
	global_load_dwordx4 v[30:33], v[30:31], off
	s_waitcnt vmcnt(0)
	v_cmp_neq_f32_e32 vcc, 0, v30
	v_cmp_neq_f32_e64 s[10:11], 0, v31
	s_or_b64 vcc, vcc, s[10:11]
	v_cndmask_b32_e32 v30, v1, v29, vcc
	v_cmp_neq_f32_e32 vcc, 0, v32
	v_cmp_neq_f32_e64 s[10:11], 0, v33
	s_or_b64 vcc, vcc, s[10:11]
	v_add_u32_e32 v31, 1, v30
	v_cndmask_b32_e32 v30, v30, v31, vcc
	v_cmp_neq_f32_e32 vcc, 0, v4
	v_cmp_neq_f32_e64 s[10:11], 0, v5
	s_or_b64 vcc, vcc, s[10:11]
	v_add_u32_e32 v4, 1, v30
	;; [unrolled: 5-line block ×3, first 2 shown]
	v_cndmask_b32_e32 v5, v4, v5, vcc
	v_mov_b32_e32 v4, v0
	v_mov_b32_e32 v6, v2
	v_mov_b32_e32 v7, v3
	s_mov_b64 s[10:11], 0
.LBB8_15:                               ;   in Loop: Header=BB8_4 Depth=1
	s_andn2_b64 vcc, exec, s[10:11]
	s_cbranch_vccnz .LBB8_17
; %bb.16:                               ;   in Loop: Header=BB8_4 Depth=1
	v_mov_b32_e32 v5, s29
	v_add_co_u32_e32 v4, vcc, s28, v27
	v_addc_co_u32_e32 v5, vcc, v5, v28, vcc
	v_mov_b32_e32 v7, s29
	v_add_co_u32_e32 v6, vcc, s28, v23
	v_addc_co_u32_e32 v7, vcc, v7, v24, vcc
	;; [unrolled: 3-line block ×3, first 2 shown]
	global_load_dwordx2 v[4:5], v[4:5], off offset:512
	s_nop 0
	global_load_dwordx2 v[6:7], v[6:7], off offset:512
	s_nop 0
	global_load_dwordx2 v[30:31], v[30:31], off offset:512
	v_mov_b32_e32 v33, s29
	v_add_co_u32_e32 v32, vcc, s28, v12
	v_addc_co_u32_e32 v33, vcc, v33, v13, vcc
	global_load_dwordx2 v[32:33], v[32:33], off offset:512
	s_waitcnt vmcnt(3)
	v_cmp_neq_f32_e32 vcc, 0, v4
	v_cmp_neq_f32_e64 s[10:11], 0, v5
	s_or_b64 vcc, vcc, s[10:11]
	s_waitcnt vmcnt(2)
	v_cmp_neq_f32_e64 s[12:13], 0, v6
	v_cmp_neq_f32_e64 s[14:15], 0, v7
	v_cndmask_b32_e32 v1, v1, v29, vcc
	v_add_u32_e32 v4, 1, v1
	s_or_b64 vcc, s[12:13], s[14:15]
	s_waitcnt vmcnt(1)
	v_cmp_neq_f32_e64 s[16:17], 0, v30
	v_cmp_neq_f32_e64 s[18:19], 0, v31
	v_cndmask_b32_e32 v1, v1, v4, vcc
	v_add_u32_e32 v4, 1, v1
	s_or_b64 vcc, s[16:17], s[18:19]
	;; [unrolled: 6-line block ×3, first 2 shown]
	v_cndmask_b32_e32 v1, v1, v4, vcc
	v_mov_b32_e32 v7, v3
	v_mov_b32_e32 v6, v2
	;; [unrolled: 1-line block ×4, first 2 shown]
.LBB8_17:                               ;   in Loop: Header=BB8_4 Depth=1
	v_mov_b32_e32 v0, v4
	v_mov_b32_e32 v1, v5
	;; [unrolled: 1-line block ×4, first 2 shown]
	s_or_b64 exec, exec, s[44:45]
	s_and_saveexec_b64 s[44:45], s[0:1]
	s_cbranch_execz .LBB8_7
.LBB8_18:                               ;   in Loop: Header=BB8_4 Depth=1
	s_mov_b64 s[10:11], -1
	s_and_b64 vcc, exec, s[8:9]
	v_add_u32_e32 v29, 1, v2
                                        ; implicit-def: $vgpr4_vgpr5_vgpr6_vgpr7
	s_cbranch_vccnz .LBB8_20
; %bb.19:                               ;   in Loop: Header=BB8_4 Depth=1
	v_add_co_u32_e32 v30, vcc, s28, v21
	v_mov_b32_e32 v4, s29
	v_addc_co_u32_e32 v31, vcc, v4, v22, vcc
	global_load_dwordx4 v[4:7], v[30:31], off offset:16
	s_nop 0
	global_load_dwordx4 v[30:33], v[30:31], off
	s_waitcnt vmcnt(0)
	v_cmp_neq_f32_e32 vcc, 0, v30
	v_cmp_neq_f32_e64 s[10:11], 0, v31
	s_or_b64 vcc, vcc, s[10:11]
	v_cndmask_b32_e32 v30, v2, v29, vcc
	v_cmp_neq_f32_e32 vcc, 0, v32
	v_cmp_neq_f32_e64 s[10:11], 0, v33
	s_or_b64 vcc, vcc, s[10:11]
	v_add_u32_e32 v31, 1, v30
	v_cndmask_b32_e32 v30, v30, v31, vcc
	v_cmp_neq_f32_e32 vcc, 0, v4
	v_cmp_neq_f32_e64 s[10:11], 0, v5
	s_or_b64 vcc, vcc, s[10:11]
	v_add_u32_e32 v4, 1, v30
	;; [unrolled: 5-line block ×3, first 2 shown]
	v_cndmask_b32_e32 v6, v4, v5, vcc
	v_mov_b32_e32 v4, v0
	v_mov_b32_e32 v5, v1
	v_mov_b32_e32 v7, v3
	s_mov_b64 s[10:11], 0
.LBB8_20:                               ;   in Loop: Header=BB8_4 Depth=1
	s_andn2_b64 vcc, exec, s[10:11]
	s_cbranch_vccnz .LBB8_22
; %bb.21:                               ;   in Loop: Header=BB8_4 Depth=1
	v_mov_b32_e32 v5, s29
	v_add_co_u32_e32 v4, vcc, s28, v27
	v_addc_co_u32_e32 v5, vcc, v5, v28, vcc
	v_mov_b32_e32 v7, s29
	v_add_co_u32_e32 v6, vcc, s28, v23
	v_addc_co_u32_e32 v7, vcc, v7, v24, vcc
	;; [unrolled: 3-line block ×3, first 2 shown]
	global_load_dwordx2 v[4:5], v[4:5], off offset:1024
	s_nop 0
	global_load_dwordx2 v[6:7], v[6:7], off offset:1024
	s_nop 0
	global_load_dwordx2 v[30:31], v[30:31], off offset:1024
	v_mov_b32_e32 v33, s29
	v_add_co_u32_e32 v32, vcc, s28, v12
	v_addc_co_u32_e32 v33, vcc, v33, v13, vcc
	global_load_dwordx2 v[32:33], v[32:33], off offset:1024
	s_waitcnt vmcnt(3)
	v_cmp_neq_f32_e32 vcc, 0, v4
	v_cmp_neq_f32_e64 s[10:11], 0, v5
	s_or_b64 vcc, vcc, s[10:11]
	s_waitcnt vmcnt(2)
	v_cmp_neq_f32_e64 s[12:13], 0, v6
	v_cmp_neq_f32_e64 s[14:15], 0, v7
	v_cndmask_b32_e32 v2, v2, v29, vcc
	v_add_u32_e32 v4, 1, v2
	s_or_b64 vcc, s[12:13], s[14:15]
	s_waitcnt vmcnt(1)
	v_cmp_neq_f32_e64 s[16:17], 0, v30
	v_cmp_neq_f32_e64 s[18:19], 0, v31
	v_cndmask_b32_e32 v2, v2, v4, vcc
	v_add_u32_e32 v4, 1, v2
	s_or_b64 vcc, s[16:17], s[18:19]
	;; [unrolled: 6-line block ×3, first 2 shown]
	v_cndmask_b32_e32 v2, v2, v4, vcc
	v_mov_b32_e32 v7, v3
	v_mov_b32_e32 v6, v2
	;; [unrolled: 1-line block ×4, first 2 shown]
.LBB8_22:                               ;   in Loop: Header=BB8_4 Depth=1
	v_mov_b32_e32 v0, v4
	v_mov_b32_e32 v1, v5
	;; [unrolled: 1-line block ×4, first 2 shown]
	s_or_b64 exec, exec, s[44:45]
	s_and_saveexec_b64 s[22:23], s[2:3]
	s_cbranch_execz .LBB8_3
.LBB8_23:                               ;   in Loop: Header=BB8_4 Depth=1
	s_mov_b64 s[10:11], -1
	s_and_b64 vcc, exec, s[8:9]
	v_add_u32_e32 v29, 1, v3
                                        ; implicit-def: $vgpr4_vgpr5_vgpr6_vgpr7
	s_cbranch_vccnz .LBB8_25
; %bb.24:                               ;   in Loop: Header=BB8_4 Depth=1
	v_add_co_u32_e32 v30, vcc, s28, v25
	v_mov_b32_e32 v4, s29
	v_addc_co_u32_e32 v31, vcc, v4, v26, vcc
	global_load_dwordx4 v[4:7], v[30:31], off offset:16
	s_nop 0
	global_load_dwordx4 v[30:33], v[30:31], off
	s_mov_b64 s[10:11], 0
	s_waitcnt vmcnt(0)
	v_cmp_neq_f32_e32 vcc, 0, v30
	v_cmp_neq_f32_e64 s[8:9], 0, v31
	s_or_b64 vcc, vcc, s[8:9]
	v_cndmask_b32_e32 v30, v3, v29, vcc
	v_cmp_neq_f32_e32 vcc, 0, v32
	v_cmp_neq_f32_e64 s[8:9], 0, v33
	s_or_b64 vcc, vcc, s[8:9]
	v_add_u32_e32 v31, 1, v30
	v_cndmask_b32_e32 v30, v30, v31, vcc
	v_cmp_neq_f32_e32 vcc, 0, v4
	v_cmp_neq_f32_e64 s[8:9], 0, v5
	s_or_b64 vcc, vcc, s[8:9]
	v_add_u32_e32 v4, 1, v30
	;; [unrolled: 5-line block ×3, first 2 shown]
	v_cndmask_b32_e32 v7, v4, v5, vcc
	v_mov_b32_e32 v4, v0
	v_mov_b32_e32 v5, v1
	;; [unrolled: 1-line block ×3, first 2 shown]
.LBB8_25:                               ;   in Loop: Header=BB8_4 Depth=1
	s_andn2_b64 vcc, exec, s[10:11]
	s_cbranch_vccnz .LBB8_2
; %bb.26:                               ;   in Loop: Header=BB8_4 Depth=1
	v_mov_b32_e32 v5, s29
	v_add_co_u32_e32 v4, vcc, s28, v27
	v_addc_co_u32_e32 v5, vcc, v5, v28, vcc
	v_mov_b32_e32 v7, s29
	v_add_co_u32_e32 v6, vcc, s28, v23
	v_addc_co_u32_e32 v7, vcc, v7, v24, vcc
	;; [unrolled: 3-line block ×3, first 2 shown]
	global_load_dwordx2 v[4:5], v[4:5], off offset:1536
	s_nop 0
	global_load_dwordx2 v[6:7], v[6:7], off offset:1536
	s_nop 0
	global_load_dwordx2 v[30:31], v[30:31], off offset:1536
	v_mov_b32_e32 v33, s29
	v_add_co_u32_e32 v32, vcc, s28, v12
	v_addc_co_u32_e32 v33, vcc, v33, v13, vcc
	global_load_dwordx2 v[32:33], v[32:33], off offset:1536
	s_waitcnt vmcnt(3)
	v_cmp_neq_f32_e32 vcc, 0, v4
	v_cmp_neq_f32_e64 s[8:9], 0, v5
	s_or_b64 vcc, vcc, s[8:9]
	s_waitcnt vmcnt(2)
	v_cmp_neq_f32_e64 s[10:11], 0, v6
	v_cmp_neq_f32_e64 s[12:13], 0, v7
	v_cndmask_b32_e32 v3, v3, v29, vcc
	v_add_u32_e32 v4, 1, v3
	s_or_b64 vcc, s[10:11], s[12:13]
	s_waitcnt vmcnt(1)
	v_cmp_neq_f32_e64 s[14:15], 0, v30
	v_cmp_neq_f32_e64 s[16:17], 0, v31
	v_cndmask_b32_e32 v3, v3, v4, vcc
	v_add_u32_e32 v4, 1, v3
	s_or_b64 vcc, s[14:15], s[16:17]
	;; [unrolled: 6-line block ×3, first 2 shown]
	v_cndmask_b32_e32 v3, v3, v4, vcc
	v_mov_b32_e32 v7, v3
	v_mov_b32_e32 v6, v2
	;; [unrolled: 1-line block ×4, first 2 shown]
	s_branch .LBB8_2
.LBB8_27:
	s_or_b64 exec, exec, s[42:43]
.LBB8_28:
	s_or_b64 exec, exec, s[36:37]
	s_sub_i32 s0, s26, s33
	s_cmp_lt_i32 s0, 1
	s_cbranch_scc1 .LBB8_126
; %bb.29:
	v_mov_b32_e32 v9, 0
	v_lshlrev_b64 v[4:5], 3, v[8:9]
	s_cmp_eq_u32 s24, 1
	v_mov_b32_e32 v6, s29
	v_add_co_u32_e32 v9, vcc, s28, v4
	s_cselect_b64 s[4:5], -1, 0
	s_cmp_lg_u32 s24, 1
	v_addc_co_u32_e32 v17, vcc, v6, v5, vcc
	s_cselect_b64 s[2:3], -1, 0
	v_cmp_gt_i32_e32 vcc, s25, v10
	v_ashrrev_i32_e32 v11, 31, v10
	s_and_saveexec_b64 s[6:7], vcc
	s_cbranch_execz .LBB8_53
; %bb.30:
	v_mul_lo_u32 v6, s31, v10
	v_mul_lo_u32 v7, s30, v11
	v_mad_u64_u32 v[4:5], s[0:1], s30, v10, 0
	v_add3_u32 v5, v5, v7, v6
	v_lshlrev_b64 v[4:5], 3, v[4:5]
	v_mov_b32_e32 v6, s29
	v_add_co_u32_e32 v12, vcc, v9, v4
	v_addc_co_u32_e32 v13, vcc, v17, v5, vcc
	v_lshlrev_b64 v[4:5], 3, v[10:11]
	v_add_co_u32_e32 v18, vcc, s28, v4
	v_addc_co_u32_e32 v19, vcc, v6, v5, vcc
	v_cmp_gt_i32_e32 vcc, s26, v8
	s_and_saveexec_b64 s[8:9], vcc
	s_cbranch_execz .LBB8_34
; %bb.31:
	v_mov_b32_e32 v4, v12
	s_andn2_b64 vcc, exec, s[4:5]
	v_mov_b32_e32 v5, v13
	s_cbranch_vccnz .LBB8_33
; %bb.32:
	v_mad_u64_u32 v[4:5], s[0:1], s30, v8, 0
	v_mad_u64_u32 v[5:6], s[0:1], s31, v8, v[5:6]
	v_lshlrev_b64 v[4:5], 3, v[4:5]
	v_add_co_u32_e32 v4, vcc, v18, v4
	v_addc_co_u32_e32 v5, vcc, v19, v5, vcc
.LBB8_33:
	global_load_dwordx2 v[4:5], v[4:5], off
	s_waitcnt vmcnt(0)
	v_cmp_neq_f32_e32 vcc, 0, v4
	v_cmp_neq_f32_e64 s[0:1], 0, v5
	s_or_b64 vcc, vcc, s[0:1]
	v_addc_co_u32_e32 v0, vcc, 0, v0, vcc
.LBB8_34:
	s_or_b64 exec, exec, s[8:9]
	v_or_b32_e32 v20, 1, v8
	v_cmp_gt_i32_e32 vcc, s26, v20
	s_and_saveexec_b64 s[8:9], vcc
	s_cbranch_execz .LBB8_40
; %bb.35:
	s_andn2_b64 vcc, exec, s[2:3]
	s_cbranch_vccnz .LBB8_37
; %bb.36:
	global_load_dwordx2 v[21:22], v[12:13], off offset:8
	v_mov_b32_e32 v7, v3
	v_mov_b32_e32 v4, v0
	v_mov_b32_e32 v6, v2
	v_mov_b32_e32 v5, v1
	s_waitcnt vmcnt(0)
	v_cmp_neq_f32_e32 vcc, 0, v21
	v_cmp_neq_f32_e64 s[0:1], 0, v22
	s_or_b64 vcc, vcc, s[0:1]
	v_addc_co_u32_e32 v4, vcc, 0, v0, vcc
	s_cbranch_execz .LBB8_38
	s_branch .LBB8_39
.LBB8_37:
                                        ; implicit-def: $vgpr4_vgpr5_vgpr6_vgpr7
.LBB8_38:
	v_mad_u64_u32 v[4:5], s[0:1], s30, v20, 0
	v_mad_u64_u32 v[5:6], s[0:1], s31, v20, v[5:6]
	v_lshlrev_b64 v[4:5], 3, v[4:5]
	v_add_co_u32_e32 v4, vcc, v18, v4
	v_addc_co_u32_e32 v5, vcc, v19, v5, vcc
	global_load_dwordx2 v[4:5], v[4:5], off
	s_waitcnt vmcnt(0)
	v_cmp_neq_f32_e32 vcc, 0, v4
	v_cmp_neq_f32_e64 s[0:1], 0, v5
	s_or_b64 vcc, vcc, s[0:1]
	v_addc_co_u32_e32 v0, vcc, 0, v0, vcc
	v_mov_b32_e32 v7, v3
	v_mov_b32_e32 v6, v2
	v_mov_b32_e32 v5, v1
	v_mov_b32_e32 v4, v0
.LBB8_39:
	v_mov_b32_e32 v0, v4
	v_mov_b32_e32 v1, v5
	v_mov_b32_e32 v2, v6
	v_mov_b32_e32 v3, v7
.LBB8_40:
	s_or_b64 exec, exec, s[8:9]
	v_or_b32_e32 v20, 2, v8
	v_cmp_gt_i32_e32 vcc, s26, v20
	s_and_saveexec_b64 s[8:9], vcc
	s_cbranch_execz .LBB8_46
; %bb.41:
	s_andn2_b64 vcc, exec, s[2:3]
	s_cbranch_vccnz .LBB8_43
; %bb.42:
	global_load_dwordx2 v[21:22], v[12:13], off offset:16
	v_mov_b32_e32 v7, v3
	v_mov_b32_e32 v4, v0
	v_mov_b32_e32 v6, v2
	v_mov_b32_e32 v5, v1
	s_waitcnt vmcnt(0)
	v_cmp_neq_f32_e32 vcc, 0, v21
	v_cmp_neq_f32_e64 s[0:1], 0, v22
	s_or_b64 vcc, vcc, s[0:1]
	v_addc_co_u32_e32 v4, vcc, 0, v0, vcc
	s_cbranch_execz .LBB8_44
	s_branch .LBB8_45
.LBB8_43:
                                        ; implicit-def: $vgpr4_vgpr5_vgpr6_vgpr7
.LBB8_44:
	v_mad_u64_u32 v[4:5], s[0:1], s30, v20, 0
	v_mad_u64_u32 v[5:6], s[0:1], s31, v20, v[5:6]
	v_lshlrev_b64 v[4:5], 3, v[4:5]
	v_add_co_u32_e32 v4, vcc, v18, v4
	v_addc_co_u32_e32 v5, vcc, v19, v5, vcc
	global_load_dwordx2 v[4:5], v[4:5], off
	s_waitcnt vmcnt(0)
	v_cmp_neq_f32_e32 vcc, 0, v4
	v_cmp_neq_f32_e64 s[0:1], 0, v5
	s_or_b64 vcc, vcc, s[0:1]
	v_addc_co_u32_e32 v0, vcc, 0, v0, vcc
	v_mov_b32_e32 v7, v3
	v_mov_b32_e32 v6, v2
	v_mov_b32_e32 v5, v1
	v_mov_b32_e32 v4, v0
.LBB8_45:
	v_mov_b32_e32 v0, v4
	v_mov_b32_e32 v1, v5
	v_mov_b32_e32 v2, v6
	v_mov_b32_e32 v3, v7
.LBB8_46:
	;; [unrolled: 45-line block ×3, first 2 shown]
	s_or_b64 exec, exec, s[8:9]
.LBB8_53:
	s_or_b64 exec, exec, s[6:7]
	v_cmp_gt_i32_e32 vcc, s25, v16
	s_and_saveexec_b64 s[6:7], vcc
	s_cbranch_execz .LBB8_77
; %bb.54:
	v_ashrrev_i32_e32 v6, 31, v16
	v_mul_lo_u32 v7, s31, v16
	v_mad_u64_u32 v[4:5], s[0:1], s30, v16, 0
	v_mul_lo_u32 v6, s30, v6
	v_add3_u32 v5, v5, v6, v7
	v_lshlrev_b64 v[4:5], 3, v[4:5]
	v_mov_b32_e32 v6, s29
	v_add_co_u32_e32 v12, vcc, v9, v4
	v_addc_co_u32_e32 v13, vcc, v17, v5, vcc
	v_lshlrev_b64 v[4:5], 3, v[10:11]
	v_add_co_u32_e32 v16, vcc, s28, v4
	v_addc_co_u32_e32 v18, vcc, v6, v5, vcc
	v_cmp_gt_i32_e32 vcc, s26, v8
	s_and_saveexec_b64 s[8:9], vcc
	s_cbranch_execz .LBB8_58
; %bb.55:
	v_mov_b32_e32 v4, v12
	s_andn2_b64 vcc, exec, s[4:5]
	v_mov_b32_e32 v5, v13
	s_cbranch_vccnz .LBB8_57
; %bb.56:
	v_mad_u64_u32 v[4:5], s[0:1], s30, v8, 0
	v_mad_u64_u32 v[5:6], s[0:1], s31, v8, v[5:6]
	v_lshlrev_b64 v[4:5], 3, v[4:5]
	v_add_co_u32_e32 v4, vcc, v16, v4
	v_addc_co_u32_e32 v5, vcc, v18, v5, vcc
	v_add_co_u32_e32 v4, vcc, 0x200, v4
	v_addc_co_u32_e32 v5, vcc, 0, v5, vcc
.LBB8_57:
	global_load_dwordx2 v[4:5], v[4:5], off
	s_waitcnt vmcnt(0)
	v_cmp_neq_f32_e32 vcc, 0, v4
	v_cmp_neq_f32_e64 s[0:1], 0, v5
	s_or_b64 vcc, vcc, s[0:1]
	v_addc_co_u32_e32 v1, vcc, 0, v1, vcc
.LBB8_58:
	s_or_b64 exec, exec, s[8:9]
	v_or_b32_e32 v19, 1, v8
	v_cmp_gt_i32_e32 vcc, s26, v19
	s_and_saveexec_b64 s[8:9], vcc
	s_cbranch_execz .LBB8_64
; %bb.59:
	s_andn2_b64 vcc, exec, s[2:3]
	s_cbranch_vccnz .LBB8_61
; %bb.60:
	global_load_dwordx2 v[20:21], v[12:13], off offset:8
	v_mov_b32_e32 v7, v3
	v_mov_b32_e32 v5, v1
	v_mov_b32_e32 v6, v2
	v_mov_b32_e32 v4, v0
	s_waitcnt vmcnt(0)
	v_cmp_neq_f32_e32 vcc, 0, v20
	v_cmp_neq_f32_e64 s[0:1], 0, v21
	s_or_b64 vcc, vcc, s[0:1]
	v_addc_co_u32_e32 v5, vcc, 0, v1, vcc
	s_cbranch_execz .LBB8_62
	s_branch .LBB8_63
.LBB8_61:
                                        ; implicit-def: $vgpr4_vgpr5_vgpr6_vgpr7
.LBB8_62:
	v_mad_u64_u32 v[4:5], s[0:1], s30, v19, 0
	v_mad_u64_u32 v[5:6], s[0:1], s31, v19, v[5:6]
	v_lshlrev_b64 v[4:5], 3, v[4:5]
	v_add_co_u32_e32 v4, vcc, v16, v4
	v_addc_co_u32_e32 v5, vcc, v18, v5, vcc
	global_load_dwordx2 v[4:5], v[4:5], off offset:512
	s_waitcnt vmcnt(0)
	v_cmp_neq_f32_e32 vcc, 0, v4
	v_cmp_neq_f32_e64 s[0:1], 0, v5
	s_or_b64 vcc, vcc, s[0:1]
	v_addc_co_u32_e32 v1, vcc, 0, v1, vcc
	v_mov_b32_e32 v7, v3
	v_mov_b32_e32 v6, v2
	v_mov_b32_e32 v5, v1
	v_mov_b32_e32 v4, v0
.LBB8_63:
	v_mov_b32_e32 v0, v4
	v_mov_b32_e32 v1, v5
	v_mov_b32_e32 v2, v6
	v_mov_b32_e32 v3, v7
.LBB8_64:
	s_or_b64 exec, exec, s[8:9]
	v_or_b32_e32 v19, 2, v8
	v_cmp_gt_i32_e32 vcc, s26, v19
	s_and_saveexec_b64 s[8:9], vcc
	s_cbranch_execz .LBB8_70
; %bb.65:
	s_andn2_b64 vcc, exec, s[2:3]
	s_cbranch_vccnz .LBB8_67
; %bb.66:
	global_load_dwordx2 v[20:21], v[12:13], off offset:16
	v_mov_b32_e32 v7, v3
	v_mov_b32_e32 v5, v1
	v_mov_b32_e32 v6, v2
	v_mov_b32_e32 v4, v0
	s_waitcnt vmcnt(0)
	v_cmp_neq_f32_e32 vcc, 0, v20
	v_cmp_neq_f32_e64 s[0:1], 0, v21
	s_or_b64 vcc, vcc, s[0:1]
	v_addc_co_u32_e32 v5, vcc, 0, v1, vcc
	s_cbranch_execz .LBB8_68
	s_branch .LBB8_69
.LBB8_67:
                                        ; implicit-def: $vgpr4_vgpr5_vgpr6_vgpr7
.LBB8_68:
	v_mad_u64_u32 v[4:5], s[0:1], s30, v19, 0
	v_mad_u64_u32 v[5:6], s[0:1], s31, v19, v[5:6]
	v_lshlrev_b64 v[4:5], 3, v[4:5]
	v_add_co_u32_e32 v4, vcc, v16, v4
	v_addc_co_u32_e32 v5, vcc, v18, v5, vcc
	global_load_dwordx2 v[4:5], v[4:5], off offset:512
	s_waitcnt vmcnt(0)
	v_cmp_neq_f32_e32 vcc, 0, v4
	v_cmp_neq_f32_e64 s[0:1], 0, v5
	s_or_b64 vcc, vcc, s[0:1]
	v_addc_co_u32_e32 v1, vcc, 0, v1, vcc
	v_mov_b32_e32 v7, v3
	v_mov_b32_e32 v6, v2
	v_mov_b32_e32 v5, v1
	v_mov_b32_e32 v4, v0
.LBB8_69:
	v_mov_b32_e32 v0, v4
	v_mov_b32_e32 v1, v5
	v_mov_b32_e32 v2, v6
	v_mov_b32_e32 v3, v7
.LBB8_70:
	s_or_b64 exec, exec, s[8:9]
	v_or_b32_e32 v19, 3, v8
	v_cmp_gt_i32_e32 vcc, s26, v19
	s_and_saveexec_b64 s[8:9], vcc
	s_cbranch_execz .LBB8_76
; %bb.71:
	s_andn2_b64 vcc, exec, s[2:3]
	s_cbranch_vccnz .LBB8_73
; %bb.72:
	global_load_dwordx2 v[12:13], v[12:13], off offset:24
	v_mov_b32_e32 v7, v3
	v_mov_b32_e32 v5, v1
	v_mov_b32_e32 v6, v2
	v_mov_b32_e32 v4, v0
	s_waitcnt vmcnt(0)
	v_cmp_neq_f32_e32 vcc, 0, v12
	v_cmp_neq_f32_e64 s[0:1], 0, v13
	s_or_b64 vcc, vcc, s[0:1]
	v_addc_co_u32_e32 v5, vcc, 0, v1, vcc
	s_cbranch_execz .LBB8_74
	s_branch .LBB8_75
.LBB8_73:
                                        ; implicit-def: $vgpr4_vgpr5_vgpr6_vgpr7
.LBB8_74:
	v_mad_u64_u32 v[4:5], s[0:1], s30, v19, 0
	v_mad_u64_u32 v[5:6], s[0:1], s31, v19, v[5:6]
	v_lshlrev_b64 v[4:5], 3, v[4:5]
	v_add_co_u32_e32 v4, vcc, v16, v4
	v_addc_co_u32_e32 v5, vcc, v18, v5, vcc
	global_load_dwordx2 v[4:5], v[4:5], off offset:512
	s_waitcnt vmcnt(0)
	v_cmp_neq_f32_e32 vcc, 0, v4
	v_cmp_neq_f32_e64 s[0:1], 0, v5
	s_or_b64 vcc, vcc, s[0:1]
	v_addc_co_u32_e32 v1, vcc, 0, v1, vcc
	v_mov_b32_e32 v7, v3
	v_mov_b32_e32 v6, v2
	v_mov_b32_e32 v5, v1
	v_mov_b32_e32 v4, v0
.LBB8_75:
	v_mov_b32_e32 v0, v4
	v_mov_b32_e32 v1, v5
	v_mov_b32_e32 v2, v6
	v_mov_b32_e32 v3, v7
.LBB8_76:
	s_or_b64 exec, exec, s[8:9]
.LBB8_77:
	s_or_b64 exec, exec, s[6:7]
	v_or_b32_e32 v4, 0x80, v10
	v_cmp_gt_i32_e32 vcc, s25, v4
	s_and_saveexec_b64 s[6:7], vcc
	s_cbranch_execz .LBB8_101
; %bb.78:
	v_ashrrev_i32_e32 v6, 31, v4
	v_mul_lo_u32 v7, s31, v4
	v_mad_u64_u32 v[4:5], s[0:1], s30, v4, 0
	v_mul_lo_u32 v6, s30, v6
	v_add3_u32 v5, v5, v6, v7
	v_lshlrev_b64 v[4:5], 3, v[4:5]
	v_mov_b32_e32 v6, s29
	v_add_co_u32_e32 v12, vcc, v9, v4
	v_addc_co_u32_e32 v13, vcc, v17, v5, vcc
	v_lshlrev_b64 v[4:5], 3, v[10:11]
	v_add_co_u32_e32 v16, vcc, s28, v4
	v_addc_co_u32_e32 v18, vcc, v6, v5, vcc
	v_cmp_gt_i32_e32 vcc, s26, v8
	s_and_saveexec_b64 s[8:9], vcc
	s_cbranch_execz .LBB8_82
; %bb.79:
	v_mov_b32_e32 v4, v12
	s_andn2_b64 vcc, exec, s[4:5]
	v_mov_b32_e32 v5, v13
	s_cbranch_vccnz .LBB8_81
; %bb.80:
	v_mad_u64_u32 v[4:5], s[0:1], s30, v8, 0
	v_mad_u64_u32 v[5:6], s[0:1], s31, v8, v[5:6]
	v_lshlrev_b64 v[4:5], 3, v[4:5]
	v_add_co_u32_e32 v4, vcc, v16, v4
	v_addc_co_u32_e32 v5, vcc, v18, v5, vcc
	v_add_co_u32_e32 v4, vcc, 0x400, v4
	v_addc_co_u32_e32 v5, vcc, 0, v5, vcc
.LBB8_81:
	global_load_dwordx2 v[4:5], v[4:5], off
	s_waitcnt vmcnt(0)
	v_cmp_neq_f32_e32 vcc, 0, v4
	v_cmp_neq_f32_e64 s[0:1], 0, v5
	s_or_b64 vcc, vcc, s[0:1]
	v_addc_co_u32_e32 v2, vcc, 0, v2, vcc
.LBB8_82:
	s_or_b64 exec, exec, s[8:9]
	v_or_b32_e32 v19, 1, v8
	v_cmp_gt_i32_e32 vcc, s26, v19
	s_and_saveexec_b64 s[8:9], vcc
	s_cbranch_execz .LBB8_88
; %bb.83:
	s_andn2_b64 vcc, exec, s[2:3]
	s_cbranch_vccnz .LBB8_85
; %bb.84:
	global_load_dwordx2 v[20:21], v[12:13], off offset:8
	v_mov_b32_e32 v7, v3
	v_mov_b32_e32 v6, v2
	v_mov_b32_e32 v5, v1
	v_mov_b32_e32 v4, v0
	s_waitcnt vmcnt(0)
	v_cmp_neq_f32_e32 vcc, 0, v20
	v_cmp_neq_f32_e64 s[0:1], 0, v21
	s_or_b64 vcc, vcc, s[0:1]
	v_addc_co_u32_e32 v6, vcc, 0, v2, vcc
	s_cbranch_execz .LBB8_86
	s_branch .LBB8_87
.LBB8_85:
                                        ; implicit-def: $vgpr4_vgpr5_vgpr6_vgpr7
.LBB8_86:
	v_mad_u64_u32 v[4:5], s[0:1], s30, v19, 0
	v_mad_u64_u32 v[5:6], s[0:1], s31, v19, v[5:6]
	v_lshlrev_b64 v[4:5], 3, v[4:5]
	v_add_co_u32_e32 v4, vcc, v16, v4
	v_addc_co_u32_e32 v5, vcc, v18, v5, vcc
	global_load_dwordx2 v[4:5], v[4:5], off offset:1024
	s_waitcnt vmcnt(0)
	v_cmp_neq_f32_e32 vcc, 0, v4
	v_cmp_neq_f32_e64 s[0:1], 0, v5
	s_or_b64 vcc, vcc, s[0:1]
	v_addc_co_u32_e32 v2, vcc, 0, v2, vcc
	v_mov_b32_e32 v7, v3
	v_mov_b32_e32 v6, v2
	v_mov_b32_e32 v5, v1
	v_mov_b32_e32 v4, v0
.LBB8_87:
	v_mov_b32_e32 v0, v4
	v_mov_b32_e32 v1, v5
	v_mov_b32_e32 v2, v6
	v_mov_b32_e32 v3, v7
.LBB8_88:
	s_or_b64 exec, exec, s[8:9]
	v_or_b32_e32 v19, 2, v8
	v_cmp_gt_i32_e32 vcc, s26, v19
	s_and_saveexec_b64 s[8:9], vcc
	s_cbranch_execz .LBB8_94
; %bb.89:
	s_andn2_b64 vcc, exec, s[2:3]
	s_cbranch_vccnz .LBB8_91
; %bb.90:
	global_load_dwordx2 v[20:21], v[12:13], off offset:16
	v_mov_b32_e32 v7, v3
	v_mov_b32_e32 v6, v2
	v_mov_b32_e32 v5, v1
	v_mov_b32_e32 v4, v0
	s_waitcnt vmcnt(0)
	v_cmp_neq_f32_e32 vcc, 0, v20
	v_cmp_neq_f32_e64 s[0:1], 0, v21
	s_or_b64 vcc, vcc, s[0:1]
	v_addc_co_u32_e32 v6, vcc, 0, v2, vcc
	s_cbranch_execz .LBB8_92
	s_branch .LBB8_93
.LBB8_91:
                                        ; implicit-def: $vgpr4_vgpr5_vgpr6_vgpr7
.LBB8_92:
	v_mad_u64_u32 v[4:5], s[0:1], s30, v19, 0
	v_mad_u64_u32 v[5:6], s[0:1], s31, v19, v[5:6]
	v_lshlrev_b64 v[4:5], 3, v[4:5]
	v_add_co_u32_e32 v4, vcc, v16, v4
	v_addc_co_u32_e32 v5, vcc, v18, v5, vcc
	global_load_dwordx2 v[4:5], v[4:5], off offset:1024
	s_waitcnt vmcnt(0)
	v_cmp_neq_f32_e32 vcc, 0, v4
	v_cmp_neq_f32_e64 s[0:1], 0, v5
	s_or_b64 vcc, vcc, s[0:1]
	v_addc_co_u32_e32 v2, vcc, 0, v2, vcc
	v_mov_b32_e32 v7, v3
	v_mov_b32_e32 v6, v2
	v_mov_b32_e32 v5, v1
	v_mov_b32_e32 v4, v0
.LBB8_93:
	v_mov_b32_e32 v0, v4
	v_mov_b32_e32 v1, v5
	v_mov_b32_e32 v2, v6
	v_mov_b32_e32 v3, v7
.LBB8_94:
	;; [unrolled: 45-line block ×3, first 2 shown]
	s_or_b64 exec, exec, s[8:9]
.LBB8_101:
	s_or_b64 exec, exec, s[6:7]
	v_or_b32_e32 v4, 0xc0, v10
	v_cmp_gt_i32_e32 vcc, s25, v4
	s_and_saveexec_b64 s[6:7], vcc
	s_cbranch_execz .LBB8_125
; %bb.102:
	v_ashrrev_i32_e32 v6, 31, v4
	v_mul_lo_u32 v7, s31, v4
	v_mad_u64_u32 v[4:5], s[0:1], s30, v4, 0
	v_mul_lo_u32 v6, s30, v6
	v_add3_u32 v5, v5, v6, v7
	v_lshlrev_b64 v[4:5], 3, v[4:5]
	v_mov_b32_e32 v6, s29
	v_add_co_u32_e32 v12, vcc, v9, v4
	v_addc_co_u32_e32 v13, vcc, v17, v5, vcc
	v_lshlrev_b64 v[4:5], 3, v[10:11]
	v_add_co_u32_e32 v9, vcc, s28, v4
	v_addc_co_u32_e32 v10, vcc, v6, v5, vcc
	v_cmp_gt_i32_e32 vcc, s26, v8
	s_and_saveexec_b64 s[8:9], vcc
	s_cbranch_execz .LBB8_106
; %bb.103:
	v_mov_b32_e32 v4, v12
	s_andn2_b64 vcc, exec, s[4:5]
	v_mov_b32_e32 v5, v13
	s_cbranch_vccnz .LBB8_105
; %bb.104:
	v_mad_u64_u32 v[4:5], s[0:1], s30, v8, 0
	v_mad_u64_u32 v[5:6], s[0:1], s31, v8, v[5:6]
	v_lshlrev_b64 v[4:5], 3, v[4:5]
	v_add_co_u32_e32 v4, vcc, v9, v4
	v_addc_co_u32_e32 v5, vcc, v10, v5, vcc
	v_add_co_u32_e32 v4, vcc, 0x600, v4
	v_addc_co_u32_e32 v5, vcc, 0, v5, vcc
.LBB8_105:
	global_load_dwordx2 v[4:5], v[4:5], off
	s_waitcnt vmcnt(0)
	v_cmp_neq_f32_e32 vcc, 0, v4
	v_cmp_neq_f32_e64 s[0:1], 0, v5
	s_or_b64 vcc, vcc, s[0:1]
	v_addc_co_u32_e32 v3, vcc, 0, v3, vcc
.LBB8_106:
	s_or_b64 exec, exec, s[8:9]
	v_or_b32_e32 v11, 1, v8
	v_cndmask_b32_e64 v4, 0, 1, s[2:3]
	v_cmp_gt_i32_e32 vcc, s26, v11
	v_cmp_ne_u32_e64 s[0:1], 1, v4
	s_and_saveexec_b64 s[4:5], vcc
	s_cbranch_execz .LBB8_112
; %bb.107:
	s_and_b64 vcc, exec, s[0:1]
	s_cbranch_vccnz .LBB8_109
; %bb.108:
	global_load_dwordx2 v[16:17], v[12:13], off offset:8
	v_mov_b32_e32 v7, v3
	v_mov_b32_e32 v6, v2
	;; [unrolled: 1-line block ×4, first 2 shown]
	s_waitcnt vmcnt(0)
	v_cmp_neq_f32_e32 vcc, 0, v16
	v_cmp_neq_f32_e64 s[2:3], 0, v17
	s_or_b64 vcc, vcc, s[2:3]
	v_addc_co_u32_e32 v7, vcc, 0, v3, vcc
	s_cbranch_execz .LBB8_110
	s_branch .LBB8_111
.LBB8_109:
                                        ; implicit-def: $vgpr4_vgpr5_vgpr6_vgpr7
.LBB8_110:
	v_mad_u64_u32 v[4:5], s[2:3], s30, v11, 0
	v_mad_u64_u32 v[5:6], s[2:3], s31, v11, v[5:6]
	v_lshlrev_b64 v[4:5], 3, v[4:5]
	v_add_co_u32_e32 v4, vcc, v9, v4
	v_addc_co_u32_e32 v5, vcc, v10, v5, vcc
	global_load_dwordx2 v[4:5], v[4:5], off offset:1536
	s_waitcnt vmcnt(0)
	v_cmp_neq_f32_e32 vcc, 0, v4
	v_cmp_neq_f32_e64 s[2:3], 0, v5
	s_or_b64 vcc, vcc, s[2:3]
	v_addc_co_u32_e32 v3, vcc, 0, v3, vcc
	v_mov_b32_e32 v7, v3
	v_mov_b32_e32 v6, v2
	;; [unrolled: 1-line block ×4, first 2 shown]
.LBB8_111:
	v_mov_b32_e32 v0, v4
	v_mov_b32_e32 v1, v5
	;; [unrolled: 1-line block ×4, first 2 shown]
.LBB8_112:
	s_or_b64 exec, exec, s[4:5]
	v_or_b32_e32 v11, 2, v8
	v_cmp_gt_i32_e32 vcc, s26, v11
	s_and_saveexec_b64 s[4:5], vcc
	s_cbranch_execz .LBB8_118
; %bb.113:
	s_and_b64 vcc, exec, s[0:1]
	s_cbranch_vccnz .LBB8_115
; %bb.114:
	global_load_dwordx2 v[16:17], v[12:13], off offset:16
	v_mov_b32_e32 v7, v3
	v_mov_b32_e32 v6, v2
	;; [unrolled: 1-line block ×4, first 2 shown]
	s_waitcnt vmcnt(0)
	v_cmp_neq_f32_e32 vcc, 0, v16
	v_cmp_neq_f32_e64 s[2:3], 0, v17
	s_or_b64 vcc, vcc, s[2:3]
	v_addc_co_u32_e32 v7, vcc, 0, v3, vcc
	s_cbranch_execz .LBB8_116
	s_branch .LBB8_117
.LBB8_115:
                                        ; implicit-def: $vgpr4_vgpr5_vgpr6_vgpr7
.LBB8_116:
	v_mad_u64_u32 v[4:5], s[2:3], s30, v11, 0
	v_mad_u64_u32 v[5:6], s[2:3], s31, v11, v[5:6]
	v_lshlrev_b64 v[4:5], 3, v[4:5]
	v_add_co_u32_e32 v4, vcc, v9, v4
	v_addc_co_u32_e32 v5, vcc, v10, v5, vcc
	global_load_dwordx2 v[4:5], v[4:5], off offset:1536
	s_waitcnt vmcnt(0)
	v_cmp_neq_f32_e32 vcc, 0, v4
	v_cmp_neq_f32_e64 s[2:3], 0, v5
	s_or_b64 vcc, vcc, s[2:3]
	v_addc_co_u32_e32 v3, vcc, 0, v3, vcc
	v_mov_b32_e32 v7, v3
	v_mov_b32_e32 v6, v2
	;; [unrolled: 1-line block ×4, first 2 shown]
.LBB8_117:
	v_mov_b32_e32 v0, v4
	v_mov_b32_e32 v1, v5
	;; [unrolled: 1-line block ×4, first 2 shown]
.LBB8_118:
	s_or_b64 exec, exec, s[4:5]
	v_or_b32_e32 v8, 3, v8
	v_cmp_gt_i32_e32 vcc, s26, v8
	s_and_saveexec_b64 s[2:3], vcc
	s_cbranch_execz .LBB8_124
; %bb.119:
	s_and_b64 vcc, exec, s[0:1]
	s_cbranch_vccnz .LBB8_121
; %bb.120:
	global_load_dwordx2 v[11:12], v[12:13], off offset:24
	v_mov_b32_e32 v7, v3
	v_mov_b32_e32 v6, v2
	;; [unrolled: 1-line block ×4, first 2 shown]
	s_waitcnt vmcnt(0)
	v_cmp_neq_f32_e32 vcc, 0, v11
	v_cmp_neq_f32_e64 s[0:1], 0, v12
	s_or_b64 vcc, vcc, s[0:1]
	v_addc_co_u32_e32 v7, vcc, 0, v3, vcc
	s_cbranch_execz .LBB8_122
	s_branch .LBB8_123
.LBB8_121:
                                        ; implicit-def: $vgpr4_vgpr5_vgpr6_vgpr7
.LBB8_122:
	v_mad_u64_u32 v[4:5], s[0:1], s30, v8, 0
	v_mad_u64_u32 v[5:6], s[0:1], s31, v8, v[5:6]
	v_lshlrev_b64 v[4:5], 3, v[4:5]
	v_add_co_u32_e32 v4, vcc, v9, v4
	v_addc_co_u32_e32 v5, vcc, v10, v5, vcc
	global_load_dwordx2 v[4:5], v[4:5], off offset:1536
	s_waitcnt vmcnt(0)
	v_cmp_neq_f32_e32 vcc, 0, v4
	v_cmp_neq_f32_e64 s[0:1], 0, v5
	s_or_b64 vcc, vcc, s[0:1]
	v_addc_co_u32_e32 v3, vcc, 0, v3, vcc
	v_mov_b32_e32 v7, v3
	v_mov_b32_e32 v6, v2
	;; [unrolled: 1-line block ×4, first 2 shown]
.LBB8_123:
	v_mov_b32_e32 v0, v4
	v_mov_b32_e32 v1, v5
	;; [unrolled: 1-line block ×4, first 2 shown]
.LBB8_124:
	s_or_b64 exec, exec, s[2:3]
.LBB8_125:
	s_or_b64 exec, exec, s[6:7]
.LBB8_126:
	v_lshlrev_b32_e32 v4, 4, v14
	v_lshlrev_b32_e32 v5, 2, v15
	s_mov_b32 s0, 0x7ffffc00
	v_and_or_b32 v4, v4, s0, v5
	s_movk_i32 s0, 0x100
	v_cmp_gt_u32_e32 vcc, s0, v14
	ds_write2st64_b32 v4, v0, v1 offset1:1
	ds_write2st64_b32 v4, v2, v3 offset0:2 offset1:3
	s_waitcnt lgkmcnt(0)
	s_barrier
	s_and_saveexec_b64 s[0:1], vcc
	s_cbranch_execz .LBB8_129
; %bb.127:
	v_lshlrev_b32_e32 v11, 2, v14
	ds_read2st64_b32 v[1:2], v11 offset1:4
	ds_read2st64_b32 v[3:4], v11 offset0:8 offset1:12
	ds_read2st64_b32 v[5:6], v11 offset0:16 offset1:20
	;; [unrolled: 1-line block ×3, first 2 shown]
	v_add_u32_e32 v0, s27, v14
	s_waitcnt lgkmcnt(3)
	v_add_u32_e32 v1, v1, v2
	s_waitcnt lgkmcnt(2)
	v_add3_u32 v1, v1, v3, v4
	s_waitcnt lgkmcnt(1)
	v_add3_u32 v12, v1, v5, v6
	ds_read2st64_b32 v[1:2], v11 offset0:32 offset1:36
	ds_read2st64_b32 v[3:4], v11 offset0:40 offset1:44
	;; [unrolled: 1-line block ×4, first 2 shown]
	s_waitcnt lgkmcnt(4)
	v_add3_u32 v7, v12, v7, v8
	s_waitcnt lgkmcnt(3)
	v_add3_u32 v1, v7, v1, v2
	;; [unrolled: 2-line block ×5, first 2 shown]
	v_cmp_gt_i32_e32 vcc, s25, v0
	ds_write_b32 v11, v2
	s_and_b64 exec, exec, vcc
	s_cbranch_execz .LBB8_129
; %bb.128:
	v_ashrrev_i32_e32 v1, 31, v0
	v_lshlrev_b64 v[0:1], 2, v[0:1]
	v_mov_b32_e32 v3, s35
	v_add_co_u32_e32 v0, vcc, s34, v0
	v_addc_co_u32_e32 v1, vcc, v3, v1, vcc
	global_store_dword v[0:1], v2, off
.LBB8_129:
	s_endpgm
	.section	.rodata,"a",@progbits
	.p2align	6, 0x0
	.amdhsa_kernel _ZN9rocsparseL14nnz_kernel_rowILi64ELi16Eii21rocsparse_complex_numIfEEEv16rocsparse_order_T2_S4_PKT3_lPT1_
		.amdhsa_group_segment_fixed_size 16384
		.amdhsa_private_segment_fixed_size 0
		.amdhsa_kernarg_size 296
		.amdhsa_user_sgpr_count 6
		.amdhsa_user_sgpr_private_segment_buffer 1
		.amdhsa_user_sgpr_dispatch_ptr 0
		.amdhsa_user_sgpr_queue_ptr 0
		.amdhsa_user_sgpr_kernarg_segment_ptr 1
		.amdhsa_user_sgpr_dispatch_id 0
		.amdhsa_user_sgpr_flat_scratch_init 0
		.amdhsa_user_sgpr_private_segment_size 0
		.amdhsa_uses_dynamic_stack 0
		.amdhsa_system_sgpr_private_segment_wavefront_offset 0
		.amdhsa_system_sgpr_workgroup_id_x 1
		.amdhsa_system_sgpr_workgroup_id_y 0
		.amdhsa_system_sgpr_workgroup_id_z 0
		.amdhsa_system_sgpr_workgroup_info 0
		.amdhsa_system_vgpr_workitem_id 1
		.amdhsa_next_free_vgpr 34
		.amdhsa_next_free_sgpr 61
		.amdhsa_reserve_vcc 1
		.amdhsa_reserve_flat_scratch 0
		.amdhsa_float_round_mode_32 0
		.amdhsa_float_round_mode_16_64 0
		.amdhsa_float_denorm_mode_32 3
		.amdhsa_float_denorm_mode_16_64 3
		.amdhsa_dx10_clamp 1
		.amdhsa_ieee_mode 1
		.amdhsa_fp16_overflow 0
		.amdhsa_exception_fp_ieee_invalid_op 0
		.amdhsa_exception_fp_denorm_src 0
		.amdhsa_exception_fp_ieee_div_zero 0
		.amdhsa_exception_fp_ieee_overflow 0
		.amdhsa_exception_fp_ieee_underflow 0
		.amdhsa_exception_fp_ieee_inexact 0
		.amdhsa_exception_int_div_zero 0
	.end_amdhsa_kernel
	.section	.text._ZN9rocsparseL14nnz_kernel_rowILi64ELi16Eii21rocsparse_complex_numIfEEEv16rocsparse_order_T2_S4_PKT3_lPT1_,"axG",@progbits,_ZN9rocsparseL14nnz_kernel_rowILi64ELi16Eii21rocsparse_complex_numIfEEEv16rocsparse_order_T2_S4_PKT3_lPT1_,comdat
.Lfunc_end8:
	.size	_ZN9rocsparseL14nnz_kernel_rowILi64ELi16Eii21rocsparse_complex_numIfEEEv16rocsparse_order_T2_S4_PKT3_lPT1_, .Lfunc_end8-_ZN9rocsparseL14nnz_kernel_rowILi64ELi16Eii21rocsparse_complex_numIfEEEv16rocsparse_order_T2_S4_PKT3_lPT1_
                                        ; -- End function
	.set _ZN9rocsparseL14nnz_kernel_rowILi64ELi16Eii21rocsparse_complex_numIfEEEv16rocsparse_order_T2_S4_PKT3_lPT1_.num_vgpr, 34
	.set _ZN9rocsparseL14nnz_kernel_rowILi64ELi16Eii21rocsparse_complex_numIfEEEv16rocsparse_order_T2_S4_PKT3_lPT1_.num_agpr, 0
	.set _ZN9rocsparseL14nnz_kernel_rowILi64ELi16Eii21rocsparse_complex_numIfEEEv16rocsparse_order_T2_S4_PKT3_lPT1_.numbered_sgpr, 46
	.set _ZN9rocsparseL14nnz_kernel_rowILi64ELi16Eii21rocsparse_complex_numIfEEEv16rocsparse_order_T2_S4_PKT3_lPT1_.num_named_barrier, 0
	.set _ZN9rocsparseL14nnz_kernel_rowILi64ELi16Eii21rocsparse_complex_numIfEEEv16rocsparse_order_T2_S4_PKT3_lPT1_.private_seg_size, 0
	.set _ZN9rocsparseL14nnz_kernel_rowILi64ELi16Eii21rocsparse_complex_numIfEEEv16rocsparse_order_T2_S4_PKT3_lPT1_.uses_vcc, 1
	.set _ZN9rocsparseL14nnz_kernel_rowILi64ELi16Eii21rocsparse_complex_numIfEEEv16rocsparse_order_T2_S4_PKT3_lPT1_.uses_flat_scratch, 0
	.set _ZN9rocsparseL14nnz_kernel_rowILi64ELi16Eii21rocsparse_complex_numIfEEEv16rocsparse_order_T2_S4_PKT3_lPT1_.has_dyn_sized_stack, 0
	.set _ZN9rocsparseL14nnz_kernel_rowILi64ELi16Eii21rocsparse_complex_numIfEEEv16rocsparse_order_T2_S4_PKT3_lPT1_.has_recursion, 0
	.set _ZN9rocsparseL14nnz_kernel_rowILi64ELi16Eii21rocsparse_complex_numIfEEEv16rocsparse_order_T2_S4_PKT3_lPT1_.has_indirect_call, 0
	.section	.AMDGPU.csdata,"",@progbits
; Kernel info:
; codeLenInByte = 5768
; TotalNumSgprs: 50
; NumVgprs: 34
; ScratchSize: 0
; MemoryBound: 0
; FloatMode: 240
; IeeeMode: 1
; LDSByteSize: 16384 bytes/workgroup (compile time only)
; SGPRBlocks: 8
; VGPRBlocks: 8
; NumSGPRsForWavesPerEU: 65
; NumVGPRsForWavesPerEU: 34
; Occupancy: 7
; WaveLimiterHint : 0
; COMPUTE_PGM_RSRC2:SCRATCH_EN: 0
; COMPUTE_PGM_RSRC2:USER_SGPR: 6
; COMPUTE_PGM_RSRC2:TRAP_HANDLER: 0
; COMPUTE_PGM_RSRC2:TGID_X_EN: 1
; COMPUTE_PGM_RSRC2:TGID_Y_EN: 0
; COMPUTE_PGM_RSRC2:TGID_Z_EN: 0
; COMPUTE_PGM_RSRC2:TIDIG_COMP_CNT: 1
	.section	.text._ZN9rocsparseL14nnz_kernel_colILi256Eii21rocsparse_complex_numIfEEEv16rocsparse_order_T1_S4_PKT2_lPT0_,"axG",@progbits,_ZN9rocsparseL14nnz_kernel_colILi256Eii21rocsparse_complex_numIfEEEv16rocsparse_order_T1_S4_PKT2_lPT0_,comdat
	.globl	_ZN9rocsparseL14nnz_kernel_colILi256Eii21rocsparse_complex_numIfEEEv16rocsparse_order_T1_S4_PKT2_lPT0_ ; -- Begin function _ZN9rocsparseL14nnz_kernel_colILi256Eii21rocsparse_complex_numIfEEEv16rocsparse_order_T1_S4_PKT2_lPT0_
	.p2align	8
	.type	_ZN9rocsparseL14nnz_kernel_colILi256Eii21rocsparse_complex_numIfEEEv16rocsparse_order_T1_S4_PKT2_lPT0_,@function
_ZN9rocsparseL14nnz_kernel_colILi256Eii21rocsparse_complex_numIfEEEv16rocsparse_order_T1_S4_PKT2_lPT0_: ; @_ZN9rocsparseL14nnz_kernel_colILi256Eii21rocsparse_complex_numIfEEEv16rocsparse_order_T1_S4_PKT2_lPT0_
; %bb.0:
	s_load_dwordx2 s[2:3], s[4:5], 0x0
	s_load_dwordx4 s[8:11], s[4:5], 0x10
	s_waitcnt lgkmcnt(0)
	s_ashr_i32 s0, s3, 31
	s_lshr_b32 s0, s0, 24
	s_add_i32 s0, s3, s0
	s_and_b32 s12, s0, 0xffffff00
	s_cmp_eq_u32 s2, 1
	s_cbranch_scc1 .LBB9_6
; %bb.1:
	s_cmpk_lt_i32 s3, 0x100
	v_mov_b32_e32 v3, 0
	s_cbranch_scc1 .LBB9_7
; %bb.2:
	v_mad_u64_u32 v[1:2], s[0:1], s10, v0, 0
	s_ashr_i32 s7, s6, 31
	s_mov_b32 s2, 0
	v_mad_u64_u32 v[2:3], s[0:1], s11, v0, v[2:3]
	s_lshl_b64 s[0:1], s[6:7], 3
	s_add_u32 s0, s8, s0
	v_lshlrev_b64 v[1:2], 3, v[1:2]
	s_addc_u32 s1, s9, s1
	v_mov_b32_e32 v3, s1
	v_add_co_u32_e32 v1, vcc, s0, v1
	v_addc_co_u32_e32 v2, vcc, v3, v2, vcc
	v_add_co_u32_e32 v1, vcc, 4, v1
	s_lshl_b64 s[14:15], s[10:11], 11
	v_addc_co_u32_e32 v2, vcc, 0, v2, vcc
	v_mov_b32_e32 v3, 0
	v_mov_b32_e32 v4, s15
	s_branch .LBB9_4
.LBB9_3:                                ;   in Loop: Header=BB9_4 Depth=1
	s_or_b64 exec, exec, s[16:17]
	s_addk_i32 s2, 0x100
	v_add_co_u32_e32 v1, vcc, s14, v1
	s_cmp_ge_i32 s2, s12
	v_addc_co_u32_e32 v2, vcc, v2, v4, vcc
	s_cbranch_scc1 .LBB9_7
.LBB9_4:                                ; =>This Inner Loop Header: Depth=1
	v_add_u32_e32 v5, s2, v0
	v_cmp_gt_i32_e32 vcc, s3, v5
	s_and_saveexec_b64 s[16:17], vcc
	s_cbranch_execz .LBB9_3
; %bb.5:                                ;   in Loop: Header=BB9_4 Depth=1
	global_load_dwordx2 v[5:6], v[1:2], off offset:-4
	s_waitcnt vmcnt(0)
	v_cmp_neq_f32_e32 vcc, 0, v5
	v_cmp_neq_f32_e64 s[0:1], 0, v6
	s_or_b64 vcc, vcc, s[0:1]
	v_addc_co_u32_e32 v3, vcc, 0, v3, vcc
	s_branch .LBB9_3
.LBB9_6:
	s_mov_b64 s[14:15], 0
                                        ; implicit-def: $vgpr3
                                        ; implicit-def: $vgpr1_vgpr2
	s_cbranch_execnz .LBB9_10
	s_branch .LBB9_16
.LBB9_7:
	v_add_u32_e32 v4, s12, v0
	v_cmp_gt_i32_e32 vcc, s3, v4
	s_mov_b64 s[0:1], 0
	s_mov_b64 s[14:15], 0
                                        ; implicit-def: $vgpr1_vgpr2
	s_and_saveexec_b64 s[16:17], vcc
	s_xor_b64 s[16:17], exec, s[16:17]
	s_cbranch_execz .LBB9_9
; %bb.8:
	v_ashrrev_i32_e32 v1, 31, v4
	v_mul_lo_u32 v5, s11, v4
	v_mul_lo_u32 v6, s10, v1
	v_mad_u64_u32 v[1:2], s[18:19], s10, v4, 0
	s_ashr_i32 s7, s6, 31
	v_mov_b32_e32 v4, s9
	v_add3_u32 v2, v2, v6, v5
	v_lshlrev_b64 v[1:2], 3, v[1:2]
	s_lshl_b64 s[18:19], s[6:7], 3
	v_add_co_u32_e32 v1, vcc, s8, v1
	v_addc_co_u32_e32 v2, vcc, v4, v2, vcc
	v_mov_b32_e32 v4, s19
	v_add_co_u32_e32 v1, vcc, s18, v1
	s_mov_b64 s[14:15], exec
	v_addc_co_u32_e32 v2, vcc, v2, v4, vcc
.LBB9_9:
	s_or_b64 exec, exec, s[16:17]
	s_and_b64 vcc, exec, s[0:1]
	s_cbranch_vccz .LBB9_16
.LBB9_10:
	s_ashr_i32 s0, s6, 31
	s_mul_hi_u32 s1, s10, s6
	s_mul_i32 s0, s10, s0
	s_add_i32 s0, s1, s0
	s_mul_i32 s1, s11, s6
	v_cmp_gt_i32_e32 vcc, s3, v0
	s_add_i32 s11, s0, s1
	v_cndmask_b32_e32 v1, 0, v0, vcc
	s_mul_i32 s10, s10, s6
	v_mov_b32_e32 v3, 0
	s_cmpk_lt_i32 s3, 0x100
	v_lshlrev_b32_e32 v4, 3, v1
	s_cbranch_scc1 .LBB9_13
; %bb.11:
	s_lshl_b64 s[0:1], s[10:11], 3
	s_add_u32 s0, s8, s0
	s_addc_u32 s1, s9, s1
	v_mov_b32_e32 v1, s1
	v_add_co_u32_e32 v2, vcc, s0, v4
	v_addc_co_u32_e32 v5, vcc, 0, v1, vcc
	v_add_co_u32_e32 v1, vcc, 4, v2
	v_mov_b32_e32 v3, 0
	v_addc_co_u32_e32 v2, vcc, 0, v5, vcc
	s_mov_b32 s2, 0
.LBB9_12:                               ; =>This Inner Loop Header: Depth=1
	global_load_dwordx2 v[5:6], v[1:2], off offset:-4
	v_add_co_u32_e32 v1, vcc, 0x800, v1
	v_addc_co_u32_e32 v2, vcc, 0, v2, vcc
	s_addk_i32 s2, 0x100
	s_waitcnt vmcnt(0)
	v_cmp_neq_f32_e32 vcc, 0, v5
	v_cmp_neq_f32_e64 s[0:1], 0, v6
	s_or_b64 vcc, vcc, s[0:1]
	s_cmp_ge_i32 s2, s12
	v_addc_co_u32_e32 v3, vcc, 0, v3, vcc
	s_cbranch_scc0 .LBB9_12
.LBB9_13:
	v_add_u32_e32 v1, s12, v0
	v_cmp_gt_i32_e32 vcc, s3, v1
                                        ; implicit-def: $vgpr1_vgpr2
	s_and_saveexec_b64 s[0:1], vcc
	s_cbranch_execz .LBB9_15
; %bb.14:
	s_lshl_b64 s[10:11], s[10:11], 3
	s_add_u32 s2, s8, s10
	s_addc_u32 s7, s9, s11
	v_mov_b32_e32 v1, s7
	v_add_co_u32_e32 v2, vcc, s2, v4
	s_ashr_i32 s13, s12, 31
	v_addc_co_u32_e32 v4, vcc, 0, v1, vcc
	s_lshl_b64 s[8:9], s[12:13], 3
	v_mov_b32_e32 v5, s9
	v_add_co_u32_e32 v1, vcc, s8, v2
	v_addc_co_u32_e32 v2, vcc, v4, v5, vcc
	s_or_b64 s[14:15], s[14:15], exec
.LBB9_15:
	s_or_b64 exec, exec, s[0:1]
.LBB9_16:
	s_and_saveexec_b64 s[8:9], s[14:15]
	s_cbranch_execz .LBB9_18
; %bb.17:
	global_load_dwordx2 v[1:2], v[1:2], off
	s_waitcnt vmcnt(0)
	v_cmp_neq_f32_e32 vcc, 0, v1
	v_cmp_neq_f32_e64 s[0:1], 0, v2
	s_or_b64 vcc, vcc, s[0:1]
	v_addc_co_u32_e32 v3, vcc, 0, v3, vcc
.LBB9_18:
	s_or_b64 exec, exec, s[8:9]
	v_lshlrev_b32_e32 v1, 2, v0
	s_cmpk_lt_i32 s3, 0x100
	s_mov_b64 s[0:1], -1
	v_cmp_eq_u32_e32 vcc, 0, v0
	ds_write_b32 v1, v3
	s_waitcnt lgkmcnt(0)
	s_cbranch_scc1 .LBB9_22
; %bb.19:
	s_and_b64 vcc, exec, s[0:1]
	s_cbranch_vccnz .LBB9_32
.LBB9_20:
	v_cmp_eq_u32_e32 vcc, 0, v0
	s_and_saveexec_b64 s[0:1], vcc
	s_cbranch_execnz .LBB9_49
.LBB9_21:
	s_endpgm
.LBB9_22:
	s_cmp_gt_i32 s3, 1
	s_cselect_b64 s[0:1], -1, 0
	s_mov_b32 s7, 1
	s_and_b64 s[8:9], vcc, s[0:1]
	s_barrier
	s_and_saveexec_b64 s[0:1], s[8:9]
	s_cbranch_execz .LBB9_31
; %bb.23:
	v_mov_b32_e32 v2, 0
	ds_read_b32 v2, v2
	s_add_i32 s2, s3, -1
	s_add_i32 s3, s3, -2
	s_cmp_lt_u32 s3, 7
	s_cbranch_scc1 .LBB9_27
; %bb.24:
	s_and_b32 s3, s2, -8
	s_mov_b32 s8, 0
	s_mov_b32 s7, 4
.LBB9_25:                               ; =>This Inner Loop Header: Depth=1
	v_mov_b32_e32 v9, s7
	ds_read2_b32 v[3:4], v9 offset1:1
	ds_read2_b32 v[5:6], v9 offset0:2 offset1:3
	ds_read2_b32 v[7:8], v9 offset0:4 offset1:5
	;; [unrolled: 1-line block ×3, first 2 shown]
	s_mov_b32 s9, s8
	s_waitcnt lgkmcnt(3)
	v_add_u32_e32 v2, v2, v3
	v_add_u32_e32 v2, v2, v4
	s_waitcnt lgkmcnt(2)
	v_add_u32_e32 v2, v2, v5
	v_add_u32_e32 v2, v2, v6
	;; [unrolled: 3-line block ×3, first 2 shown]
	s_add_i32 s7, s7, 32
	s_add_i32 s8, s8, 8
	s_waitcnt lgkmcnt(0)
	v_add_u32_e32 v2, v2, v9
	s_cmp_lg_u32 s3, s8
	v_add_u32_e32 v2, v2, v10
	s_cbranch_scc1 .LBB9_25
; %bb.26:
	s_add_i32 s7, s9, 9
.LBB9_27:
	s_and_b32 s2, s2, 7
	s_cmp_eq_u32 s2, 0
	s_cbranch_scc1 .LBB9_30
; %bb.28:
	s_lshl_b32 s3, s7, 2
.LBB9_29:                               ; =>This Inner Loop Header: Depth=1
	v_mov_b32_e32 v3, s3
	ds_read_b32 v3, v3
	s_add_i32 s3, s3, 4
	s_add_i32 s2, s2, -1
	s_cmp_lg_u32 s2, 0
	s_waitcnt lgkmcnt(0)
	v_add_u32_e32 v2, v2, v3
	s_cbranch_scc1 .LBB9_29
.LBB9_30:
	v_mov_b32_e32 v3, 0
	s_waitcnt lgkmcnt(0)
	ds_write_b32 v3, v2
.LBB9_31:
	s_or_b64 exec, exec, s[0:1]
	s_waitcnt lgkmcnt(0)
	s_barrier
	s_branch .LBB9_20
.LBB9_32:
	s_movk_i32 s0, 0x80
	v_cmp_gt_u32_e32 vcc, s0, v0
	s_barrier
	s_and_saveexec_b64 s[0:1], vcc
	s_cbranch_execz .LBB9_34
; %bb.33:
	ds_read2st64_b32 v[2:3], v1 offset1:2
	s_waitcnt lgkmcnt(0)
	v_add_u32_e32 v2, v2, v3
	ds_write_b32 v1, v2
.LBB9_34:
	s_or_b64 exec, exec, s[0:1]
	v_cmp_gt_u32_e32 vcc, 64, v0
	s_waitcnt lgkmcnt(0)
	s_barrier
	s_and_saveexec_b64 s[0:1], vcc
	s_cbranch_execz .LBB9_36
; %bb.35:
	ds_read2st64_b32 v[2:3], v1 offset1:1
	s_waitcnt lgkmcnt(0)
	v_add_u32_e32 v2, v2, v3
	ds_write_b32 v1, v2
.LBB9_36:
	s_or_b64 exec, exec, s[0:1]
	v_cmp_gt_u32_e32 vcc, 32, v0
	s_waitcnt lgkmcnt(0)
	s_barrier
	s_and_saveexec_b64 s[0:1], vcc
	s_cbranch_execz .LBB9_38
; %bb.37:
	ds_read2_b32 v[2:3], v1 offset1:32
	s_waitcnt lgkmcnt(0)
	v_add_u32_e32 v2, v2, v3
	ds_write_b32 v1, v2
.LBB9_38:
	s_or_b64 exec, exec, s[0:1]
	v_cmp_gt_u32_e32 vcc, 16, v0
	s_waitcnt lgkmcnt(0)
	s_barrier
	s_and_saveexec_b64 s[0:1], vcc
	s_cbranch_execz .LBB9_40
; %bb.39:
	ds_read2_b32 v[2:3], v1 offset1:16
	s_waitcnt lgkmcnt(0)
	v_add_u32_e32 v2, v2, v3
	ds_write_b32 v1, v2
.LBB9_40:
	s_or_b64 exec, exec, s[0:1]
	v_cmp_gt_u32_e32 vcc, 8, v0
	s_waitcnt lgkmcnt(0)
	s_barrier
	s_and_saveexec_b64 s[0:1], vcc
	s_cbranch_execz .LBB9_42
; %bb.41:
	ds_read2_b32 v[2:3], v1 offset1:8
	s_waitcnt lgkmcnt(0)
	v_add_u32_e32 v2, v2, v3
	ds_write_b32 v1, v2
.LBB9_42:
	s_or_b64 exec, exec, s[0:1]
	v_cmp_gt_u32_e32 vcc, 4, v0
	s_waitcnt lgkmcnt(0)
	s_barrier
	s_and_saveexec_b64 s[0:1], vcc
	s_cbranch_execz .LBB9_44
; %bb.43:
	ds_read2_b32 v[2:3], v1 offset1:4
	s_waitcnt lgkmcnt(0)
	v_add_u32_e32 v2, v2, v3
	ds_write_b32 v1, v2
.LBB9_44:
	s_or_b64 exec, exec, s[0:1]
	v_cmp_gt_u32_e32 vcc, 2, v0
	s_waitcnt lgkmcnt(0)
	s_barrier
	s_and_saveexec_b64 s[0:1], vcc
	s_cbranch_execz .LBB9_46
; %bb.45:
	ds_read2_b32 v[2:3], v1 offset1:2
	s_waitcnt lgkmcnt(0)
	v_add_u32_e32 v2, v2, v3
	ds_write_b32 v1, v2
.LBB9_46:
	s_or_b64 exec, exec, s[0:1]
	v_cmp_eq_u32_e32 vcc, 0, v0
	s_waitcnt lgkmcnt(0)
	s_barrier
	s_and_saveexec_b64 s[0:1], vcc
	s_cbranch_execz .LBB9_48
; %bb.47:
	v_mov_b32_e32 v3, 0
	ds_read_b64 v[1:2], v3
	s_waitcnt lgkmcnt(0)
	v_add_u32_e32 v1, v1, v2
	ds_write_b32 v3, v1
.LBB9_48:
	s_or_b64 exec, exec, s[0:1]
	s_waitcnt lgkmcnt(0)
	s_barrier
	v_cmp_eq_u32_e32 vcc, 0, v0
	s_and_saveexec_b64 s[0:1], vcc
	s_cbranch_execz .LBB9_21
.LBB9_49:
	s_load_dwordx2 s[0:1], s[4:5], 0x20
	v_mov_b32_e32 v0, 0
	ds_read_b32 v1, v0
	s_ashr_i32 s7, s6, 31
	s_lshl_b64 s[2:3], s[6:7], 2
	s_waitcnt lgkmcnt(0)
	s_add_u32 s0, s0, s2
	s_addc_u32 s1, s1, s3
	global_store_dword v0, v1, s[0:1]
	s_endpgm
	.section	.rodata,"a",@progbits
	.p2align	6, 0x0
	.amdhsa_kernel _ZN9rocsparseL14nnz_kernel_colILi256Eii21rocsparse_complex_numIfEEEv16rocsparse_order_T1_S4_PKT2_lPT0_
		.amdhsa_group_segment_fixed_size 1024
		.amdhsa_private_segment_fixed_size 0
		.amdhsa_kernarg_size 40
		.amdhsa_user_sgpr_count 6
		.amdhsa_user_sgpr_private_segment_buffer 1
		.amdhsa_user_sgpr_dispatch_ptr 0
		.amdhsa_user_sgpr_queue_ptr 0
		.amdhsa_user_sgpr_kernarg_segment_ptr 1
		.amdhsa_user_sgpr_dispatch_id 0
		.amdhsa_user_sgpr_flat_scratch_init 0
		.amdhsa_user_sgpr_private_segment_size 0
		.amdhsa_uses_dynamic_stack 0
		.amdhsa_system_sgpr_private_segment_wavefront_offset 0
		.amdhsa_system_sgpr_workgroup_id_x 1
		.amdhsa_system_sgpr_workgroup_id_y 0
		.amdhsa_system_sgpr_workgroup_id_z 0
		.amdhsa_system_sgpr_workgroup_info 0
		.amdhsa_system_vgpr_workitem_id 0
		.amdhsa_next_free_vgpr 11
		.amdhsa_next_free_sgpr 20
		.amdhsa_reserve_vcc 1
		.amdhsa_reserve_flat_scratch 0
		.amdhsa_float_round_mode_32 0
		.amdhsa_float_round_mode_16_64 0
		.amdhsa_float_denorm_mode_32 3
		.amdhsa_float_denorm_mode_16_64 3
		.amdhsa_dx10_clamp 1
		.amdhsa_ieee_mode 1
		.amdhsa_fp16_overflow 0
		.amdhsa_exception_fp_ieee_invalid_op 0
		.amdhsa_exception_fp_denorm_src 0
		.amdhsa_exception_fp_ieee_div_zero 0
		.amdhsa_exception_fp_ieee_overflow 0
		.amdhsa_exception_fp_ieee_underflow 0
		.amdhsa_exception_fp_ieee_inexact 0
		.amdhsa_exception_int_div_zero 0
	.end_amdhsa_kernel
	.section	.text._ZN9rocsparseL14nnz_kernel_colILi256Eii21rocsparse_complex_numIfEEEv16rocsparse_order_T1_S4_PKT2_lPT0_,"axG",@progbits,_ZN9rocsparseL14nnz_kernel_colILi256Eii21rocsparse_complex_numIfEEEv16rocsparse_order_T1_S4_PKT2_lPT0_,comdat
.Lfunc_end9:
	.size	_ZN9rocsparseL14nnz_kernel_colILi256Eii21rocsparse_complex_numIfEEEv16rocsparse_order_T1_S4_PKT2_lPT0_, .Lfunc_end9-_ZN9rocsparseL14nnz_kernel_colILi256Eii21rocsparse_complex_numIfEEEv16rocsparse_order_T1_S4_PKT2_lPT0_
                                        ; -- End function
	.set _ZN9rocsparseL14nnz_kernel_colILi256Eii21rocsparse_complex_numIfEEEv16rocsparse_order_T1_S4_PKT2_lPT0_.num_vgpr, 11
	.set _ZN9rocsparseL14nnz_kernel_colILi256Eii21rocsparse_complex_numIfEEEv16rocsparse_order_T1_S4_PKT2_lPT0_.num_agpr, 0
	.set _ZN9rocsparseL14nnz_kernel_colILi256Eii21rocsparse_complex_numIfEEEv16rocsparse_order_T1_S4_PKT2_lPT0_.numbered_sgpr, 20
	.set _ZN9rocsparseL14nnz_kernel_colILi256Eii21rocsparse_complex_numIfEEEv16rocsparse_order_T1_S4_PKT2_lPT0_.num_named_barrier, 0
	.set _ZN9rocsparseL14nnz_kernel_colILi256Eii21rocsparse_complex_numIfEEEv16rocsparse_order_T1_S4_PKT2_lPT0_.private_seg_size, 0
	.set _ZN9rocsparseL14nnz_kernel_colILi256Eii21rocsparse_complex_numIfEEEv16rocsparse_order_T1_S4_PKT2_lPT0_.uses_vcc, 1
	.set _ZN9rocsparseL14nnz_kernel_colILi256Eii21rocsparse_complex_numIfEEEv16rocsparse_order_T1_S4_PKT2_lPT0_.uses_flat_scratch, 0
	.set _ZN9rocsparseL14nnz_kernel_colILi256Eii21rocsparse_complex_numIfEEEv16rocsparse_order_T1_S4_PKT2_lPT0_.has_dyn_sized_stack, 0
	.set _ZN9rocsparseL14nnz_kernel_colILi256Eii21rocsparse_complex_numIfEEEv16rocsparse_order_T1_S4_PKT2_lPT0_.has_recursion, 0
	.set _ZN9rocsparseL14nnz_kernel_colILi256Eii21rocsparse_complex_numIfEEEv16rocsparse_order_T1_S4_PKT2_lPT0_.has_indirect_call, 0
	.section	.AMDGPU.csdata,"",@progbits
; Kernel info:
; codeLenInByte = 1384
; TotalNumSgprs: 24
; NumVgprs: 11
; ScratchSize: 0
; MemoryBound: 0
; FloatMode: 240
; IeeeMode: 1
; LDSByteSize: 1024 bytes/workgroup (compile time only)
; SGPRBlocks: 2
; VGPRBlocks: 2
; NumSGPRsForWavesPerEU: 24
; NumVGPRsForWavesPerEU: 11
; Occupancy: 10
; WaveLimiterHint : 0
; COMPUTE_PGM_RSRC2:SCRATCH_EN: 0
; COMPUTE_PGM_RSRC2:USER_SGPR: 6
; COMPUTE_PGM_RSRC2:TRAP_HANDLER: 0
; COMPUTE_PGM_RSRC2:TGID_X_EN: 1
; COMPUTE_PGM_RSRC2:TGID_Y_EN: 0
; COMPUTE_PGM_RSRC2:TGID_Z_EN: 0
; COMPUTE_PGM_RSRC2:TIDIG_COMP_CNT: 0
	.section	.text._ZN9rocsparseL14nnz_kernel_rowILi64ELi16Eii21rocsparse_complex_numIdEEEv16rocsparse_order_T2_S4_PKT3_lPT1_,"axG",@progbits,_ZN9rocsparseL14nnz_kernel_rowILi64ELi16Eii21rocsparse_complex_numIdEEEv16rocsparse_order_T2_S4_PKT3_lPT1_,comdat
	.globl	_ZN9rocsparseL14nnz_kernel_rowILi64ELi16Eii21rocsparse_complex_numIdEEEv16rocsparse_order_T2_S4_PKT3_lPT1_ ; -- Begin function _ZN9rocsparseL14nnz_kernel_rowILi64ELi16Eii21rocsparse_complex_numIdEEEv16rocsparse_order_T2_S4_PKT3_lPT1_
	.p2align	8
	.type	_ZN9rocsparseL14nnz_kernel_rowILi64ELi16Eii21rocsparse_complex_numIdEEEv16rocsparse_order_T2_S4_PKT3_lPT1_,@function
_ZN9rocsparseL14nnz_kernel_rowILi64ELi16Eii21rocsparse_complex_numIdEEEv16rocsparse_order_T2_S4_PKT3_lPT1_: ; @_ZN9rocsparseL14nnz_kernel_rowILi64ELi16Eii21rocsparse_complex_numIdEEEv16rocsparse_order_T2_S4_PKT3_lPT1_
; %bb.0:
	s_load_dword s0, s[4:5], 0x34
	s_load_dwordx2 s[34:35], s[4:5], 0x20
	s_load_dwordx8 s[24:31], s[4:5], 0x0
	s_waitcnt lgkmcnt(0)
	s_lshl_b32 s27, s6, 8
	s_and_b32 s0, s0, 0xffff
	v_mad_u32_u24 v14, v1, s0, v0
	s_ashr_i32 s0, s26, 31
	s_lshr_b32 s0, s0, 26
	v_and_b32_e32 v15, 63, v14
	s_add_i32 s33, s26, s0
	v_lshrrev_b32_e32 v0, 4, v14
	v_or_b32_e32 v10, s27, v15
	s_andn2_b32 s33, s33, 63
	v_and_b32_e32 v8, 0x7ffffc, v0
	v_mov_b32_e32 v0, 0
	v_cmp_gt_i32_e32 vcc, s33, v8
	v_mov_b32_e32 v1, v0
	v_mov_b32_e32 v2, v0
	;; [unrolled: 1-line block ×3, first 2 shown]
	v_or_b32_e32 v16, 64, v10
	s_and_saveexec_b64 s[36:37], vcc
	s_cbranch_execz .LBB10_28
; %bb.1:
	v_lshrrev_b32_e32 v9, 6, v14
	v_lshlrev_b32_e32 v21, 2, v9
	v_add_u32_e32 v1, s27, v15
	v_or_b32_e32 v11, 3, v21
	v_mad_u64_u32 v[3:4], s[0:1], s30, v11, 0
	v_mad_u64_u32 v[5:6], s[0:1], s30, v1, 0
	v_ashrrev_i32_e32 v2, 31, v1
	v_mul_lo_u32 v7, s30, v2
	v_mad_u64_u32 v[11:12], s[0:1], s31, v11, v[4:5]
	v_add_u32_e32 v4, 64, v1
	v_ashrrev_i32_e32 v12, 31, v4
	v_mul_lo_u32 v23, s30, v12
	v_or_b32_e32 v12, 2, v21
	v_mad_u64_u32 v[19:20], s[0:1], s30, v12, 0
	v_mul_lo_u32 v24, s31, v4
	v_mad_u64_u32 v[17:18], s[0:1], s30, v4, 0
	v_mov_b32_e32 v4, v20
	v_mad_u64_u32 v[12:13], s[0:1], s31, v12, v[4:5]
	v_mov_b32_e32 v4, v11
	v_mul_lo_u32 v22, s31, v1
	v_mov_b32_e32 v20, v12
	v_mov_b32_e32 v11, s30
	;; [unrolled: 1-line block ×3, first 2 shown]
	v_add3_u32 v18, v18, v23, v24
	v_mad_u64_u32 v[23:24], s[0:1], s30, v21, v[11:12]
	v_add_u32_e32 v13, 0x80, v1
	v_mad_u64_u32 v[27:28], s[0:1], s30, v9, 0
	v_add3_u32 v6, v6, v7, v22
	v_ashrrev_i32_e32 v7, 31, v13
	v_mul_lo_u32 v29, s30, v7
	v_mov_b32_e32 v7, v24
	v_mad_u64_u32 v[11:12], s[0:1], s31, v21, v[7:8]
	v_add_u32_e32 v7, 0xc0, v1
	v_ashrrev_i32_e32 v12, 31, v7
	v_mul_lo_u32 v32, s31, v7
	v_mad_u64_u32 v[25:26], s[0:1], s30, v7, 0
	v_mov_b32_e32 v7, v28
	v_mul_lo_u32 v30, s31, v13
	v_mad_u64_u32 v[21:22], s[0:1], s30, v13, 0
	v_mul_lo_u32 v31, s30, v12
	v_mad_u64_u32 v[12:13], s[0:1], s31, v9, v[7:8]
	v_or_b32_e32 v7, 0x80, v10
	v_cmp_gt_i32_e64 s[0:1], s25, v7
	v_or_b32_e32 v7, 0xc0, v10
	v_lshlrev_b64 v[5:6], 4, v[5:6]
	v_cmp_gt_i32_e64 s[2:3], s25, v7
	v_and_b32_e32 v7, 0x7ffffc0, v14
	v_add_co_u32_e32 v9, vcc, v5, v7
	v_lshlrev_b64 v[3:4], 4, v[3:4]
	v_lshlrev_b64 v[1:2], 4, v[1:2]
	v_mov_b32_e32 v24, v11
	v_addc_co_u32_e32 v11, vcc, 0, v6, vcc
	v_mov_b32_e32 v28, v12
	v_add_co_u32_e32 v12, vcc, v3, v1
	v_addc_co_u32_e32 v13, vcc, v4, v2, vcc
	v_lshlrev_b64 v[3:4], 4, v[17:18]
	v_add3_u32 v22, v22, v29, v30
	v_add_co_u32_e32 v17, vcc, v3, v7
	v_addc_co_u32_e32 v18, vcc, 0, v4, vcc
	v_lshlrev_b64 v[3:4], 4, v[19:20]
	v_add3_u32 v26, v26, v31, v32
	v_add_co_u32_e32 v19, vcc, v3, v1
	v_addc_co_u32_e32 v20, vcc, v4, v2, vcc
	v_lshlrev_b64 v[3:4], 4, v[21:22]
	s_cmp_lg_u32 s24, 1
	v_add_co_u32_e32 v21, vcc, v3, v7
	v_addc_co_u32_e32 v22, vcc, 0, v4, vcc
	v_lshlrev_b64 v[3:4], 4, v[23:24]
	s_cselect_b64 s[38:39], -1, 0
	v_add_co_u32_e32 v23, vcc, v3, v1
	v_addc_co_u32_e32 v24, vcc, v4, v2, vcc
	v_lshlrev_b64 v[3:4], 4, v[25:26]
	v_cmp_gt_i32_e64 s[4:5], s25, v10
	v_add_co_u32_e32 v25, vcc, v3, v7
	v_addc_co_u32_e32 v26, vcc, 0, v4, vcc
	v_lshlrev_b64 v[3:4], 6, v[27:28]
	v_cmp_gt_i32_e64 s[6:7], s25, v16
	v_add_co_u32_e32 v27, vcc, v3, v1
	s_lshl_b64 s[40:41], s[30:31], 10
	v_addc_co_u32_e32 v28, vcc, v4, v2, vcc
	v_mov_b32_e32 v1, v0
	v_mov_b32_e32 v2, v0
	v_mov_b32_e32 v3, v0
	s_mov_b64 s[42:43], 0
	s_branch .LBB10_4
.LBB10_2:                               ;   in Loop: Header=BB10_4 Depth=1
	v_mov_b32_e32 v0, v4
	v_mov_b32_e32 v1, v5
	;; [unrolled: 1-line block ×4, first 2 shown]
.LBB10_3:                               ;   in Loop: Header=BB10_4 Depth=1
	s_or_b64 exec, exec, s[22:23]
	v_add_co_u32_e32 v9, vcc, 0x400, v9
	v_addc_co_u32_e32 v11, vcc, 0, v11, vcc
	v_mov_b32_e32 v4, s41
	v_add_co_u32_e32 v12, vcc, s40, v12
	v_addc_co_u32_e32 v13, vcc, v13, v4, vcc
	v_add_co_u32_e32 v17, vcc, 0x400, v17
	v_addc_co_u32_e32 v18, vcc, 0, v18, vcc
	;; [unrolled: 2-line block ×5, first 2 shown]
	v_add_co_u32_e32 v25, vcc, 0x400, v25
	v_add_u32_e32 v8, 64, v8
	v_addc_co_u32_e32 v26, vcc, 0, v26, vcc
	v_cmp_le_i32_e32 vcc, s33, v8
	s_or_b64 s[42:43], vcc, s[42:43]
	v_add_co_u32_e32 v27, vcc, s40, v27
	v_addc_co_u32_e32 v28, vcc, v28, v4, vcc
	s_andn2_b64 exec, exec, s[42:43]
	s_cbranch_execz .LBB10_27
.LBB10_4:                               ; =>This Inner Loop Header: Depth=1
	v_cndmask_b32_e64 v4, 0, 1, s[38:39]
	v_cmp_ne_u32_e64 s[8:9], 1, v4
	s_and_saveexec_b64 s[44:45], s[4:5]
	s_cbranch_execnz .LBB10_8
; %bb.5:                                ;   in Loop: Header=BB10_4 Depth=1
	s_or_b64 exec, exec, s[44:45]
	s_and_saveexec_b64 s[44:45], s[6:7]
	s_cbranch_execnz .LBB10_13
.LBB10_6:                               ;   in Loop: Header=BB10_4 Depth=1
	s_or_b64 exec, exec, s[44:45]
	s_and_saveexec_b64 s[44:45], s[0:1]
	s_cbranch_execnz .LBB10_18
.LBB10_7:                               ;   in Loop: Header=BB10_4 Depth=1
	s_or_b64 exec, exec, s[44:45]
	s_and_saveexec_b64 s[22:23], s[2:3]
	s_cbranch_execz .LBB10_3
	s_branch .LBB10_23
.LBB10_8:                               ;   in Loop: Header=BB10_4 Depth=1
	s_mov_b64 s[10:11], -1
	s_and_b64 vcc, exec, s[8:9]
	v_add_u32_e32 v29, 1, v0
                                        ; implicit-def: $vgpr4_vgpr5_vgpr6_vgpr7
	s_cbranch_vccnz .LBB10_10
; %bb.9:                                ;   in Loop: Header=BB10_4 Depth=1
	v_mov_b32_e32 v4, s29
	v_add_co_u32_e32 v38, vcc, s28, v9
	v_addc_co_u32_e32 v39, vcc, v4, v11, vcc
	global_load_dwordx4 v[4:7], v[38:39], off
	global_load_dwordx4 v[30:33], v[38:39], off offset:16
	global_load_dwordx4 v[34:37], v[38:39], off offset:32
	s_nop 0
	global_load_dwordx4 v[38:41], v[38:39], off offset:48
	s_waitcnt vmcnt(3)
	v_cmp_neq_f64_e32 vcc, 0, v[4:5]
	v_cmp_neq_f64_e64 s[10:11], 0, v[6:7]
	s_waitcnt vmcnt(2)
	v_cmp_neq_f64_e64 s[12:13], 0, v[30:31]
	v_cmp_neq_f64_e64 s[14:15], 0, v[32:33]
	s_waitcnt vmcnt(1)
	v_cmp_neq_f64_e64 s[16:17], 0, v[34:35]
	;; [unrolled: 3-line block ×3, first 2 shown]
	v_cmp_neq_f64_e64 s[22:23], 0, v[40:41]
	v_mov_b32_e32 v5, v1
	s_or_b64 vcc, vcc, s[10:11]
	v_cndmask_b32_e32 v4, v0, v29, vcc
	s_or_b64 s[10:11], s[12:13], s[14:15]
	v_add_u32_e32 v30, 1, v4
	v_cndmask_b32_e64 v4, v4, v30, s[10:11]
	s_or_b64 s[12:13], s[16:17], s[18:19]
	v_add_u32_e32 v30, 1, v4
	v_cndmask_b32_e64 v4, v4, v30, s[12:13]
	s_or_b64 s[14:15], s[20:21], s[22:23]
	v_add_u32_e32 v30, 1, v4
	v_mov_b32_e32 v6, v2
	v_mov_b32_e32 v7, v3
	v_cndmask_b32_e64 v4, v4, v30, s[14:15]
	s_mov_b64 s[10:11], 0
.LBB10_10:                              ;   in Loop: Header=BB10_4 Depth=1
	s_andn2_b64 vcc, exec, s[10:11]
	s_cbranch_vccnz .LBB10_12
; %bb.11:                               ;   in Loop: Header=BB10_4 Depth=1
	v_mov_b32_e32 v5, s29
	v_add_co_u32_e32 v4, vcc, s28, v27
	v_addc_co_u32_e32 v5, vcc, v5, v28, vcc
	v_mov_b32_e32 v6, s29
	v_add_co_u32_e32 v30, vcc, s28, v23
	v_addc_co_u32_e32 v31, vcc, v6, v24, vcc
	global_load_dwordx4 v[4:7], v[4:5], off
	s_nop 0
	global_load_dwordx4 v[30:33], v[30:31], off
	v_mov_b32_e32 v35, s29
	v_add_co_u32_e32 v34, vcc, s28, v19
	v_addc_co_u32_e32 v35, vcc, v35, v20, vcc
	global_load_dwordx4 v[34:37], v[34:35], off
	v_mov_b32_e32 v39, s29
	v_add_co_u32_e32 v38, vcc, s28, v12
	v_addc_co_u32_e32 v39, vcc, v39, v13, vcc
	global_load_dwordx4 v[38:41], v[38:39], off
	s_waitcnt vmcnt(3)
	v_cmp_neq_f64_e32 vcc, 0, v[4:5]
	v_cmp_neq_f64_e64 s[10:11], 0, v[6:7]
	s_waitcnt vmcnt(2)
	v_cmp_neq_f64_e64 s[12:13], 0, v[30:31]
	v_cmp_neq_f64_e64 s[14:15], 0, v[32:33]
	s_waitcnt vmcnt(1)
	v_cmp_neq_f64_e64 s[16:17], 0, v[34:35]
	v_cmp_neq_f64_e64 s[18:19], 0, v[36:37]
	s_or_b64 vcc, vcc, s[10:11]
	v_cndmask_b32_e32 v0, v0, v29, vcc
	v_add_u32_e32 v4, 1, v0
	s_or_b64 vcc, s[12:13], s[14:15]
	s_waitcnt vmcnt(0)
	v_cmp_neq_f64_e64 s[20:21], 0, v[38:39]
	v_cmp_neq_f64_e64 s[22:23], 0, v[40:41]
	v_cndmask_b32_e32 v0, v0, v4, vcc
	v_add_u32_e32 v4, 1, v0
	s_or_b64 vcc, s[16:17], s[18:19]
	v_cndmask_b32_e32 v0, v0, v4, vcc
	v_add_u32_e32 v4, 1, v0
	s_or_b64 vcc, s[20:21], s[22:23]
	v_cndmask_b32_e32 v0, v0, v4, vcc
	v_mov_b32_e32 v7, v3
	v_mov_b32_e32 v6, v2
	;; [unrolled: 1-line block ×4, first 2 shown]
.LBB10_12:                              ;   in Loop: Header=BB10_4 Depth=1
	v_mov_b32_e32 v0, v4
	v_mov_b32_e32 v1, v5
	;; [unrolled: 1-line block ×4, first 2 shown]
	s_or_b64 exec, exec, s[44:45]
	s_and_saveexec_b64 s[44:45], s[6:7]
	s_cbranch_execz .LBB10_6
.LBB10_13:                              ;   in Loop: Header=BB10_4 Depth=1
	s_mov_b64 s[10:11], -1
	s_and_b64 vcc, exec, s[8:9]
	v_add_u32_e32 v29, 1, v1
                                        ; implicit-def: $vgpr4_vgpr5_vgpr6_vgpr7
	s_cbranch_vccnz .LBB10_15
; %bb.14:                               ;   in Loop: Header=BB10_4 Depth=1
	v_mov_b32_e32 v5, s29
	v_add_co_u32_e32 v4, vcc, s28, v17
	v_addc_co_u32_e32 v5, vcc, v5, v18, vcc
	global_load_dwordx4 v[30:33], v[4:5], off
	global_load_dwordx4 v[34:37], v[4:5], off offset:16
	global_load_dwordx4 v[38:41], v[4:5], off offset:32
	;; [unrolled: 1-line block ×3, first 2 shown]
	v_mov_b32_e32 v4, v0
	v_mov_b32_e32 v6, v2
	;; [unrolled: 1-line block ×3, first 2 shown]
	s_waitcnt vmcnt(3)
	v_cmp_neq_f64_e32 vcc, 0, v[30:31]
	v_cmp_neq_f64_e64 s[10:11], 0, v[32:33]
	s_waitcnt vmcnt(2)
	v_cmp_neq_f64_e64 s[12:13], 0, v[34:35]
	v_cmp_neq_f64_e64 s[14:15], 0, v[36:37]
	s_waitcnt vmcnt(1)
	v_cmp_neq_f64_e64 s[16:17], 0, v[38:39]
	;; [unrolled: 3-line block ×3, first 2 shown]
	v_cmp_neq_f64_e64 s[22:23], 0, v[44:45]
	s_or_b64 vcc, vcc, s[10:11]
	v_cndmask_b32_e32 v5, v1, v29, vcc
	v_add_u32_e32 v30, 1, v5
	s_or_b64 vcc, s[12:13], s[14:15]
	v_cndmask_b32_e32 v5, v5, v30, vcc
	v_add_u32_e32 v30, 1, v5
	s_or_b64 vcc, s[16:17], s[18:19]
	;; [unrolled: 3-line block ×3, first 2 shown]
	v_cndmask_b32_e32 v5, v5, v30, vcc
	s_mov_b64 s[10:11], 0
.LBB10_15:                              ;   in Loop: Header=BB10_4 Depth=1
	s_andn2_b64 vcc, exec, s[10:11]
	s_cbranch_vccnz .LBB10_17
; %bb.16:                               ;   in Loop: Header=BB10_4 Depth=1
	v_mov_b32_e32 v5, s29
	v_add_co_u32_e32 v4, vcc, s28, v27
	v_addc_co_u32_e32 v5, vcc, v5, v28, vcc
	v_mov_b32_e32 v6, s29
	v_add_co_u32_e32 v30, vcc, s28, v23
	v_addc_co_u32_e32 v31, vcc, v6, v24, vcc
	global_load_dwordx4 v[4:7], v[4:5], off offset:1024
	s_nop 0
	global_load_dwordx4 v[30:33], v[30:31], off offset:1024
	v_mov_b32_e32 v35, s29
	v_add_co_u32_e32 v34, vcc, s28, v19
	v_addc_co_u32_e32 v35, vcc, v35, v20, vcc
	global_load_dwordx4 v[34:37], v[34:35], off offset:1024
	v_mov_b32_e32 v39, s29
	v_add_co_u32_e32 v38, vcc, s28, v12
	v_addc_co_u32_e32 v39, vcc, v39, v13, vcc
	global_load_dwordx4 v[38:41], v[38:39], off offset:1024
	s_waitcnt vmcnt(3)
	v_cmp_neq_f64_e32 vcc, 0, v[4:5]
	v_cmp_neq_f64_e64 s[10:11], 0, v[6:7]
	s_waitcnt vmcnt(2)
	v_cmp_neq_f64_e64 s[12:13], 0, v[30:31]
	v_cmp_neq_f64_e64 s[14:15], 0, v[32:33]
	s_waitcnt vmcnt(1)
	v_cmp_neq_f64_e64 s[16:17], 0, v[34:35]
	v_cmp_neq_f64_e64 s[18:19], 0, v[36:37]
	s_or_b64 vcc, vcc, s[10:11]
	v_cndmask_b32_e32 v1, v1, v29, vcc
	v_add_u32_e32 v4, 1, v1
	s_or_b64 vcc, s[12:13], s[14:15]
	s_waitcnt vmcnt(0)
	v_cmp_neq_f64_e64 s[20:21], 0, v[38:39]
	v_cmp_neq_f64_e64 s[22:23], 0, v[40:41]
	v_cndmask_b32_e32 v1, v1, v4, vcc
	v_add_u32_e32 v4, 1, v1
	s_or_b64 vcc, s[16:17], s[18:19]
	v_cndmask_b32_e32 v1, v1, v4, vcc
	v_add_u32_e32 v4, 1, v1
	s_or_b64 vcc, s[20:21], s[22:23]
	v_cndmask_b32_e32 v1, v1, v4, vcc
	v_mov_b32_e32 v7, v3
	v_mov_b32_e32 v6, v2
	;; [unrolled: 1-line block ×4, first 2 shown]
.LBB10_17:                              ;   in Loop: Header=BB10_4 Depth=1
	v_mov_b32_e32 v0, v4
	v_mov_b32_e32 v1, v5
	;; [unrolled: 1-line block ×4, first 2 shown]
	s_or_b64 exec, exec, s[44:45]
	s_and_saveexec_b64 s[44:45], s[0:1]
	s_cbranch_execz .LBB10_7
.LBB10_18:                              ;   in Loop: Header=BB10_4 Depth=1
	s_mov_b64 s[10:11], -1
	s_and_b64 vcc, exec, s[8:9]
	v_add_u32_e32 v29, 1, v2
                                        ; implicit-def: $vgpr4_vgpr5_vgpr6_vgpr7
	s_cbranch_vccnz .LBB10_20
; %bb.19:                               ;   in Loop: Header=BB10_4 Depth=1
	v_mov_b32_e32 v5, s29
	v_add_co_u32_e32 v4, vcc, s28, v21
	v_addc_co_u32_e32 v5, vcc, v5, v22, vcc
	global_load_dwordx4 v[30:33], v[4:5], off
	global_load_dwordx4 v[34:37], v[4:5], off offset:16
	global_load_dwordx4 v[38:41], v[4:5], off offset:32
	global_load_dwordx4 v[42:45], v[4:5], off offset:48
	v_mov_b32_e32 v4, v0
	v_mov_b32_e32 v5, v1
	;; [unrolled: 1-line block ×3, first 2 shown]
	s_waitcnt vmcnt(3)
	v_cmp_neq_f64_e32 vcc, 0, v[30:31]
	v_cmp_neq_f64_e64 s[10:11], 0, v[32:33]
	s_waitcnt vmcnt(2)
	v_cmp_neq_f64_e64 s[12:13], 0, v[34:35]
	v_cmp_neq_f64_e64 s[14:15], 0, v[36:37]
	s_waitcnt vmcnt(1)
	v_cmp_neq_f64_e64 s[16:17], 0, v[38:39]
	;; [unrolled: 3-line block ×3, first 2 shown]
	v_cmp_neq_f64_e64 s[22:23], 0, v[44:45]
	s_or_b64 vcc, vcc, s[10:11]
	v_cndmask_b32_e32 v6, v2, v29, vcc
	v_add_u32_e32 v30, 1, v6
	s_or_b64 vcc, s[12:13], s[14:15]
	v_cndmask_b32_e32 v6, v6, v30, vcc
	v_add_u32_e32 v30, 1, v6
	s_or_b64 vcc, s[16:17], s[18:19]
	;; [unrolled: 3-line block ×3, first 2 shown]
	v_cndmask_b32_e32 v6, v6, v30, vcc
	s_mov_b64 s[10:11], 0
.LBB10_20:                              ;   in Loop: Header=BB10_4 Depth=1
	s_andn2_b64 vcc, exec, s[10:11]
	s_cbranch_vccnz .LBB10_22
; %bb.21:                               ;   in Loop: Header=BB10_4 Depth=1
	v_mov_b32_e32 v5, s29
	v_add_co_u32_e32 v4, vcc, s28, v27
	v_addc_co_u32_e32 v5, vcc, v5, v28, vcc
	v_mov_b32_e32 v6, s29
	v_add_co_u32_e32 v30, vcc, s28, v23
	v_addc_co_u32_e32 v31, vcc, v6, v24, vcc
	global_load_dwordx4 v[4:7], v[4:5], off offset:2048
	s_nop 0
	global_load_dwordx4 v[30:33], v[30:31], off offset:2048
	v_mov_b32_e32 v35, s29
	v_add_co_u32_e32 v34, vcc, s28, v19
	v_addc_co_u32_e32 v35, vcc, v35, v20, vcc
	global_load_dwordx4 v[34:37], v[34:35], off offset:2048
	v_mov_b32_e32 v39, s29
	v_add_co_u32_e32 v38, vcc, s28, v12
	v_addc_co_u32_e32 v39, vcc, v39, v13, vcc
	global_load_dwordx4 v[38:41], v[38:39], off offset:2048
	s_waitcnt vmcnt(3)
	v_cmp_neq_f64_e32 vcc, 0, v[4:5]
	v_cmp_neq_f64_e64 s[10:11], 0, v[6:7]
	s_waitcnt vmcnt(2)
	v_cmp_neq_f64_e64 s[12:13], 0, v[30:31]
	v_cmp_neq_f64_e64 s[14:15], 0, v[32:33]
	s_waitcnt vmcnt(1)
	v_cmp_neq_f64_e64 s[16:17], 0, v[34:35]
	v_cmp_neq_f64_e64 s[18:19], 0, v[36:37]
	s_or_b64 vcc, vcc, s[10:11]
	v_cndmask_b32_e32 v2, v2, v29, vcc
	v_add_u32_e32 v4, 1, v2
	s_or_b64 vcc, s[12:13], s[14:15]
	s_waitcnt vmcnt(0)
	v_cmp_neq_f64_e64 s[20:21], 0, v[38:39]
	v_cmp_neq_f64_e64 s[22:23], 0, v[40:41]
	v_cndmask_b32_e32 v2, v2, v4, vcc
	v_add_u32_e32 v4, 1, v2
	s_or_b64 vcc, s[16:17], s[18:19]
	v_cndmask_b32_e32 v2, v2, v4, vcc
	v_add_u32_e32 v4, 1, v2
	s_or_b64 vcc, s[20:21], s[22:23]
	v_cndmask_b32_e32 v2, v2, v4, vcc
	v_mov_b32_e32 v7, v3
	v_mov_b32_e32 v6, v2
	;; [unrolled: 1-line block ×4, first 2 shown]
.LBB10_22:                              ;   in Loop: Header=BB10_4 Depth=1
	v_mov_b32_e32 v0, v4
	v_mov_b32_e32 v1, v5
	;; [unrolled: 1-line block ×4, first 2 shown]
	s_or_b64 exec, exec, s[44:45]
	s_and_saveexec_b64 s[22:23], s[2:3]
	s_cbranch_execz .LBB10_3
.LBB10_23:                              ;   in Loop: Header=BB10_4 Depth=1
	s_mov_b64 s[10:11], -1
	s_and_b64 vcc, exec, s[8:9]
	v_add_u32_e32 v29, 1, v3
                                        ; implicit-def: $vgpr4_vgpr5_vgpr6_vgpr7
	s_cbranch_vccnz .LBB10_25
; %bb.24:                               ;   in Loop: Header=BB10_4 Depth=1
	v_mov_b32_e32 v5, s29
	v_add_co_u32_e32 v4, vcc, s28, v25
	v_addc_co_u32_e32 v5, vcc, v5, v26, vcc
	global_load_dwordx4 v[30:33], v[4:5], off
	global_load_dwordx4 v[34:37], v[4:5], off offset:16
	global_load_dwordx4 v[38:41], v[4:5], off offset:32
	;; [unrolled: 1-line block ×3, first 2 shown]
	v_mov_b32_e32 v4, v0
	v_mov_b32_e32 v5, v1
	;; [unrolled: 1-line block ×3, first 2 shown]
	s_waitcnt vmcnt(3)
	v_cmp_neq_f64_e32 vcc, 0, v[30:31]
	v_cmp_neq_f64_e64 s[8:9], 0, v[32:33]
	s_waitcnt vmcnt(2)
	v_cmp_neq_f64_e64 s[10:11], 0, v[34:35]
	v_cmp_neq_f64_e64 s[12:13], 0, v[36:37]
	s_waitcnt vmcnt(1)
	v_cmp_neq_f64_e64 s[14:15], 0, v[38:39]
	v_cmp_neq_f64_e64 s[16:17], 0, v[40:41]
	s_waitcnt vmcnt(0)
	v_cmp_neq_f64_e64 s[18:19], 0, v[42:43]
	v_cmp_neq_f64_e64 s[20:21], 0, v[44:45]
	s_or_b64 vcc, vcc, s[8:9]
	v_cndmask_b32_e32 v7, v3, v29, vcc
	v_add_u32_e32 v30, 1, v7
	s_or_b64 vcc, s[10:11], s[12:13]
	v_cndmask_b32_e32 v7, v7, v30, vcc
	v_add_u32_e32 v30, 1, v7
	s_or_b64 vcc, s[14:15], s[16:17]
	;; [unrolled: 3-line block ×3, first 2 shown]
	v_cndmask_b32_e32 v7, v7, v30, vcc
	s_mov_b64 s[10:11], 0
.LBB10_25:                              ;   in Loop: Header=BB10_4 Depth=1
	s_andn2_b64 vcc, exec, s[10:11]
	s_cbranch_vccnz .LBB10_2
; %bb.26:                               ;   in Loop: Header=BB10_4 Depth=1
	v_mov_b32_e32 v5, s29
	v_add_co_u32_e32 v4, vcc, s28, v27
	v_addc_co_u32_e32 v5, vcc, v5, v28, vcc
	v_mov_b32_e32 v6, s29
	v_add_co_u32_e32 v30, vcc, s28, v23
	v_addc_co_u32_e32 v31, vcc, v6, v24, vcc
	global_load_dwordx4 v[4:7], v[4:5], off offset:3072
	s_nop 0
	global_load_dwordx4 v[30:33], v[30:31], off offset:3072
	v_mov_b32_e32 v35, s29
	v_add_co_u32_e32 v34, vcc, s28, v19
	v_addc_co_u32_e32 v35, vcc, v35, v20, vcc
	global_load_dwordx4 v[34:37], v[34:35], off offset:3072
	v_mov_b32_e32 v39, s29
	v_add_co_u32_e32 v38, vcc, s28, v12
	v_addc_co_u32_e32 v39, vcc, v39, v13, vcc
	global_load_dwordx4 v[38:41], v[38:39], off offset:3072
	s_waitcnt vmcnt(3)
	v_cmp_neq_f64_e32 vcc, 0, v[4:5]
	v_cmp_neq_f64_e64 s[8:9], 0, v[6:7]
	s_waitcnt vmcnt(2)
	v_cmp_neq_f64_e64 s[10:11], 0, v[30:31]
	v_cmp_neq_f64_e64 s[12:13], 0, v[32:33]
	s_waitcnt vmcnt(1)
	v_cmp_neq_f64_e64 s[14:15], 0, v[34:35]
	v_cmp_neq_f64_e64 s[16:17], 0, v[36:37]
	s_or_b64 vcc, vcc, s[8:9]
	v_cndmask_b32_e32 v3, v3, v29, vcc
	v_add_u32_e32 v4, 1, v3
	s_or_b64 vcc, s[10:11], s[12:13]
	s_waitcnt vmcnt(0)
	v_cmp_neq_f64_e64 s[18:19], 0, v[38:39]
	v_cmp_neq_f64_e64 s[20:21], 0, v[40:41]
	v_cndmask_b32_e32 v3, v3, v4, vcc
	v_add_u32_e32 v4, 1, v3
	s_or_b64 vcc, s[14:15], s[16:17]
	v_cndmask_b32_e32 v3, v3, v4, vcc
	v_add_u32_e32 v4, 1, v3
	s_or_b64 vcc, s[18:19], s[20:21]
	v_cndmask_b32_e32 v3, v3, v4, vcc
	v_mov_b32_e32 v7, v3
	v_mov_b32_e32 v6, v2
	;; [unrolled: 1-line block ×4, first 2 shown]
	s_branch .LBB10_2
.LBB10_27:
	s_or_b64 exec, exec, s[42:43]
.LBB10_28:
	s_or_b64 exec, exec, s[36:37]
	s_sub_i32 s0, s26, s33
	s_cmp_lt_i32 s0, 1
	s_cbranch_scc1 .LBB10_126
; %bb.29:
	v_mov_b32_e32 v9, 0
	v_lshlrev_b64 v[4:5], 4, v[8:9]
	s_cmp_eq_u32 s24, 1
	v_mov_b32_e32 v6, s29
	v_add_co_u32_e32 v9, vcc, s28, v4
	s_cselect_b64 s[4:5], -1, 0
	s_cmp_lg_u32 s24, 1
	v_addc_co_u32_e32 v17, vcc, v6, v5, vcc
	s_cselect_b64 s[2:3], -1, 0
	v_cmp_gt_i32_e32 vcc, s25, v10
	v_ashrrev_i32_e32 v11, 31, v10
	s_and_saveexec_b64 s[6:7], vcc
	s_cbranch_execz .LBB10_53
; %bb.30:
	v_mul_lo_u32 v6, s31, v10
	v_mul_lo_u32 v7, s30, v11
	v_mad_u64_u32 v[4:5], s[0:1], s30, v10, 0
	v_add3_u32 v5, v5, v7, v6
	v_lshlrev_b64 v[4:5], 4, v[4:5]
	v_mov_b32_e32 v6, s29
	v_add_co_u32_e32 v12, vcc, v9, v4
	v_addc_co_u32_e32 v13, vcc, v17, v5, vcc
	v_lshlrev_b64 v[4:5], 4, v[10:11]
	v_add_co_u32_e32 v18, vcc, s28, v4
	v_addc_co_u32_e32 v19, vcc, v6, v5, vcc
	v_cmp_gt_i32_e32 vcc, s26, v8
	s_and_saveexec_b64 s[8:9], vcc
	s_cbranch_execz .LBB10_34
; %bb.31:
	v_mov_b32_e32 v4, v12
	s_andn2_b64 vcc, exec, s[4:5]
	v_mov_b32_e32 v5, v13
	s_cbranch_vccnz .LBB10_33
; %bb.32:
	v_mad_u64_u32 v[4:5], s[0:1], s30, v8, 0
	v_mad_u64_u32 v[5:6], s[0:1], s31, v8, v[5:6]
	v_lshlrev_b64 v[4:5], 4, v[4:5]
	v_add_co_u32_e32 v4, vcc, v18, v4
	v_addc_co_u32_e32 v5, vcc, v19, v5, vcc
.LBB10_33:
	global_load_dwordx4 v[4:7], v[4:5], off
	s_waitcnt vmcnt(0)
	v_cmp_neq_f64_e32 vcc, 0, v[4:5]
	v_cmp_neq_f64_e64 s[0:1], 0, v[6:7]
	s_or_b64 vcc, vcc, s[0:1]
	v_addc_co_u32_e32 v0, vcc, 0, v0, vcc
.LBB10_34:
	s_or_b64 exec, exec, s[8:9]
	v_or_b32_e32 v20, 1, v8
	v_cmp_gt_i32_e32 vcc, s26, v20
	s_and_saveexec_b64 s[8:9], vcc
	s_cbranch_execz .LBB10_40
; %bb.35:
	s_andn2_b64 vcc, exec, s[2:3]
	s_cbranch_vccnz .LBB10_37
; %bb.36:
	global_load_dwordx4 v[4:7], v[12:13], off offset:16
	s_waitcnt vmcnt(0)
	v_cmp_neq_f64_e32 vcc, 0, v[4:5]
	v_cmp_neq_f64_e64 s[0:1], 0, v[6:7]
	v_mov_b32_e32 v7, v3
	v_mov_b32_e32 v4, v0
	v_mov_b32_e32 v6, v2
	v_mov_b32_e32 v5, v1
	s_or_b64 vcc, vcc, s[0:1]
	v_addc_co_u32_e32 v21, vcc, 0, v0, vcc
	v_mov_b32_e32 v4, v21
	s_cbranch_execz .LBB10_38
	s_branch .LBB10_39
.LBB10_37:
                                        ; implicit-def: $vgpr4_vgpr5_vgpr6_vgpr7
.LBB10_38:
	v_mad_u64_u32 v[4:5], s[0:1], s30, v20, 0
	v_mad_u64_u32 v[5:6], s[0:1], s31, v20, v[5:6]
	v_lshlrev_b64 v[4:5], 4, v[4:5]
	v_add_co_u32_e32 v4, vcc, v18, v4
	v_addc_co_u32_e32 v5, vcc, v19, v5, vcc
	global_load_dwordx4 v[4:7], v[4:5], off
	s_waitcnt vmcnt(0)
	v_cmp_neq_f64_e32 vcc, 0, v[4:5]
	v_cmp_neq_f64_e64 s[0:1], 0, v[6:7]
	s_or_b64 vcc, vcc, s[0:1]
	v_addc_co_u32_e32 v0, vcc, 0, v0, vcc
	v_mov_b32_e32 v7, v3
	v_mov_b32_e32 v6, v2
	v_mov_b32_e32 v5, v1
	v_mov_b32_e32 v4, v0
.LBB10_39:
	v_mov_b32_e32 v0, v4
	v_mov_b32_e32 v1, v5
	v_mov_b32_e32 v2, v6
	v_mov_b32_e32 v3, v7
.LBB10_40:
	s_or_b64 exec, exec, s[8:9]
	v_or_b32_e32 v20, 2, v8
	v_cmp_gt_i32_e32 vcc, s26, v20
	s_and_saveexec_b64 s[8:9], vcc
	s_cbranch_execz .LBB10_46
; %bb.41:
	s_andn2_b64 vcc, exec, s[2:3]
	s_cbranch_vccnz .LBB10_43
; %bb.42:
	global_load_dwordx4 v[4:7], v[12:13], off offset:32
	s_waitcnt vmcnt(0)
	v_cmp_neq_f64_e32 vcc, 0, v[4:5]
	v_cmp_neq_f64_e64 s[0:1], 0, v[6:7]
	v_mov_b32_e32 v7, v3
	v_mov_b32_e32 v4, v0
	v_mov_b32_e32 v6, v2
	v_mov_b32_e32 v5, v1
	s_or_b64 vcc, vcc, s[0:1]
	v_addc_co_u32_e32 v21, vcc, 0, v0, vcc
	v_mov_b32_e32 v4, v21
	s_cbranch_execz .LBB10_44
	s_branch .LBB10_45
.LBB10_43:
                                        ; implicit-def: $vgpr4_vgpr5_vgpr6_vgpr7
.LBB10_44:
	v_mad_u64_u32 v[4:5], s[0:1], s30, v20, 0
	v_mad_u64_u32 v[5:6], s[0:1], s31, v20, v[5:6]
	v_lshlrev_b64 v[4:5], 4, v[4:5]
	v_add_co_u32_e32 v4, vcc, v18, v4
	v_addc_co_u32_e32 v5, vcc, v19, v5, vcc
	global_load_dwordx4 v[4:7], v[4:5], off
	s_waitcnt vmcnt(0)
	v_cmp_neq_f64_e32 vcc, 0, v[4:5]
	v_cmp_neq_f64_e64 s[0:1], 0, v[6:7]
	s_or_b64 vcc, vcc, s[0:1]
	v_addc_co_u32_e32 v0, vcc, 0, v0, vcc
	v_mov_b32_e32 v7, v3
	v_mov_b32_e32 v6, v2
	v_mov_b32_e32 v5, v1
	v_mov_b32_e32 v4, v0
.LBB10_45:
	v_mov_b32_e32 v0, v4
	v_mov_b32_e32 v1, v5
	v_mov_b32_e32 v2, v6
	v_mov_b32_e32 v3, v7
.LBB10_46:
	;; [unrolled: 46-line block ×3, first 2 shown]
	s_or_b64 exec, exec, s[8:9]
.LBB10_53:
	s_or_b64 exec, exec, s[6:7]
	v_cmp_gt_i32_e32 vcc, s25, v16
	s_and_saveexec_b64 s[6:7], vcc
	s_cbranch_execz .LBB10_77
; %bb.54:
	v_ashrrev_i32_e32 v6, 31, v16
	v_mul_lo_u32 v7, s31, v16
	v_mad_u64_u32 v[4:5], s[0:1], s30, v16, 0
	v_mul_lo_u32 v6, s30, v6
	v_add3_u32 v5, v5, v6, v7
	v_lshlrev_b64 v[4:5], 4, v[4:5]
	v_mov_b32_e32 v6, s29
	v_add_co_u32_e32 v12, vcc, v9, v4
	v_addc_co_u32_e32 v13, vcc, v17, v5, vcc
	v_lshlrev_b64 v[4:5], 4, v[10:11]
	v_add_co_u32_e32 v16, vcc, s28, v4
	v_addc_co_u32_e32 v18, vcc, v6, v5, vcc
	v_cmp_gt_i32_e32 vcc, s26, v8
	s_and_saveexec_b64 s[8:9], vcc
	s_cbranch_execz .LBB10_58
; %bb.55:
	v_mov_b32_e32 v4, v12
	s_andn2_b64 vcc, exec, s[4:5]
	v_mov_b32_e32 v5, v13
	s_cbranch_vccnz .LBB10_57
; %bb.56:
	v_mad_u64_u32 v[4:5], s[0:1], s30, v8, 0
	v_mad_u64_u32 v[5:6], s[0:1], s31, v8, v[5:6]
	v_lshlrev_b64 v[4:5], 4, v[4:5]
	v_add_co_u32_e32 v4, vcc, v16, v4
	v_addc_co_u32_e32 v5, vcc, v18, v5, vcc
	v_add_co_u32_e32 v4, vcc, 0x400, v4
	v_addc_co_u32_e32 v5, vcc, 0, v5, vcc
.LBB10_57:
	global_load_dwordx4 v[4:7], v[4:5], off
	s_waitcnt vmcnt(0)
	v_cmp_neq_f64_e32 vcc, 0, v[4:5]
	v_cmp_neq_f64_e64 s[0:1], 0, v[6:7]
	s_or_b64 vcc, vcc, s[0:1]
	v_addc_co_u32_e32 v1, vcc, 0, v1, vcc
.LBB10_58:
	s_or_b64 exec, exec, s[8:9]
	v_or_b32_e32 v19, 1, v8
	v_cmp_gt_i32_e32 vcc, s26, v19
	s_and_saveexec_b64 s[8:9], vcc
	s_cbranch_execz .LBB10_64
; %bb.59:
	s_andn2_b64 vcc, exec, s[2:3]
	s_cbranch_vccnz .LBB10_61
; %bb.60:
	global_load_dwordx4 v[4:7], v[12:13], off offset:16
	s_waitcnt vmcnt(0)
	v_cmp_neq_f64_e32 vcc, 0, v[4:5]
	v_cmp_neq_f64_e64 s[0:1], 0, v[6:7]
	v_mov_b32_e32 v7, v3
	v_mov_b32_e32 v5, v1
	v_mov_b32_e32 v6, v2
	v_mov_b32_e32 v4, v0
	s_or_b64 vcc, vcc, s[0:1]
	v_addc_co_u32_e32 v20, vcc, 0, v1, vcc
	v_mov_b32_e32 v5, v20
	s_cbranch_execz .LBB10_62
	s_branch .LBB10_63
.LBB10_61:
                                        ; implicit-def: $vgpr4_vgpr5_vgpr6_vgpr7
.LBB10_62:
	v_mad_u64_u32 v[4:5], s[0:1], s30, v19, 0
	v_mad_u64_u32 v[5:6], s[0:1], s31, v19, v[5:6]
	v_lshlrev_b64 v[4:5], 4, v[4:5]
	v_add_co_u32_e32 v4, vcc, v16, v4
	v_addc_co_u32_e32 v5, vcc, v18, v5, vcc
	global_load_dwordx4 v[4:7], v[4:5], off offset:1024
	s_waitcnt vmcnt(0)
	v_cmp_neq_f64_e32 vcc, 0, v[4:5]
	v_cmp_neq_f64_e64 s[0:1], 0, v[6:7]
	s_or_b64 vcc, vcc, s[0:1]
	v_addc_co_u32_e32 v1, vcc, 0, v1, vcc
	v_mov_b32_e32 v7, v3
	v_mov_b32_e32 v6, v2
	v_mov_b32_e32 v5, v1
	v_mov_b32_e32 v4, v0
.LBB10_63:
	v_mov_b32_e32 v0, v4
	v_mov_b32_e32 v1, v5
	v_mov_b32_e32 v2, v6
	v_mov_b32_e32 v3, v7
.LBB10_64:
	s_or_b64 exec, exec, s[8:9]
	v_or_b32_e32 v19, 2, v8
	v_cmp_gt_i32_e32 vcc, s26, v19
	s_and_saveexec_b64 s[8:9], vcc
	s_cbranch_execz .LBB10_70
; %bb.65:
	s_andn2_b64 vcc, exec, s[2:3]
	s_cbranch_vccnz .LBB10_67
; %bb.66:
	global_load_dwordx4 v[4:7], v[12:13], off offset:32
	s_waitcnt vmcnt(0)
	v_cmp_neq_f64_e32 vcc, 0, v[4:5]
	v_cmp_neq_f64_e64 s[0:1], 0, v[6:7]
	v_mov_b32_e32 v7, v3
	v_mov_b32_e32 v5, v1
	v_mov_b32_e32 v6, v2
	v_mov_b32_e32 v4, v0
	s_or_b64 vcc, vcc, s[0:1]
	v_addc_co_u32_e32 v20, vcc, 0, v1, vcc
	v_mov_b32_e32 v5, v20
	s_cbranch_execz .LBB10_68
	s_branch .LBB10_69
.LBB10_67:
                                        ; implicit-def: $vgpr4_vgpr5_vgpr6_vgpr7
.LBB10_68:
	v_mad_u64_u32 v[4:5], s[0:1], s30, v19, 0
	v_mad_u64_u32 v[5:6], s[0:1], s31, v19, v[5:6]
	v_lshlrev_b64 v[4:5], 4, v[4:5]
	v_add_co_u32_e32 v4, vcc, v16, v4
	v_addc_co_u32_e32 v5, vcc, v18, v5, vcc
	global_load_dwordx4 v[4:7], v[4:5], off offset:1024
	s_waitcnt vmcnt(0)
	v_cmp_neq_f64_e32 vcc, 0, v[4:5]
	v_cmp_neq_f64_e64 s[0:1], 0, v[6:7]
	s_or_b64 vcc, vcc, s[0:1]
	v_addc_co_u32_e32 v1, vcc, 0, v1, vcc
	v_mov_b32_e32 v7, v3
	v_mov_b32_e32 v6, v2
	v_mov_b32_e32 v5, v1
	v_mov_b32_e32 v4, v0
.LBB10_69:
	v_mov_b32_e32 v0, v4
	v_mov_b32_e32 v1, v5
	v_mov_b32_e32 v2, v6
	v_mov_b32_e32 v3, v7
.LBB10_70:
	;; [unrolled: 46-line block ×3, first 2 shown]
	s_or_b64 exec, exec, s[8:9]
.LBB10_77:
	s_or_b64 exec, exec, s[6:7]
	v_or_b32_e32 v4, 0x80, v10
	v_cmp_gt_i32_e32 vcc, s25, v4
	s_and_saveexec_b64 s[6:7], vcc
	s_cbranch_execz .LBB10_101
; %bb.78:
	v_ashrrev_i32_e32 v6, 31, v4
	v_mul_lo_u32 v7, s31, v4
	v_mad_u64_u32 v[4:5], s[0:1], s30, v4, 0
	v_mul_lo_u32 v6, s30, v6
	v_add3_u32 v5, v5, v6, v7
	v_lshlrev_b64 v[4:5], 4, v[4:5]
	v_mov_b32_e32 v6, s29
	v_add_co_u32_e32 v12, vcc, v9, v4
	v_addc_co_u32_e32 v13, vcc, v17, v5, vcc
	v_lshlrev_b64 v[4:5], 4, v[10:11]
	v_add_co_u32_e32 v16, vcc, s28, v4
	v_addc_co_u32_e32 v18, vcc, v6, v5, vcc
	v_cmp_gt_i32_e32 vcc, s26, v8
	s_and_saveexec_b64 s[8:9], vcc
	s_cbranch_execz .LBB10_82
; %bb.79:
	v_mov_b32_e32 v4, v12
	s_andn2_b64 vcc, exec, s[4:5]
	v_mov_b32_e32 v5, v13
	s_cbranch_vccnz .LBB10_81
; %bb.80:
	v_mad_u64_u32 v[4:5], s[0:1], s30, v8, 0
	v_mad_u64_u32 v[5:6], s[0:1], s31, v8, v[5:6]
	v_lshlrev_b64 v[4:5], 4, v[4:5]
	v_add_co_u32_e32 v4, vcc, v16, v4
	v_addc_co_u32_e32 v5, vcc, v18, v5, vcc
	v_add_co_u32_e32 v4, vcc, 0x800, v4
	v_addc_co_u32_e32 v5, vcc, 0, v5, vcc
.LBB10_81:
	global_load_dwordx4 v[4:7], v[4:5], off
	s_waitcnt vmcnt(0)
	v_cmp_neq_f64_e32 vcc, 0, v[4:5]
	v_cmp_neq_f64_e64 s[0:1], 0, v[6:7]
	s_or_b64 vcc, vcc, s[0:1]
	v_addc_co_u32_e32 v2, vcc, 0, v2, vcc
.LBB10_82:
	s_or_b64 exec, exec, s[8:9]
	v_or_b32_e32 v19, 1, v8
	v_cmp_gt_i32_e32 vcc, s26, v19
	s_and_saveexec_b64 s[8:9], vcc
	s_cbranch_execz .LBB10_88
; %bb.83:
	s_andn2_b64 vcc, exec, s[2:3]
	s_cbranch_vccnz .LBB10_85
; %bb.84:
	global_load_dwordx4 v[4:7], v[12:13], off offset:16
	s_waitcnt vmcnt(0)
	v_cmp_neq_f64_e32 vcc, 0, v[4:5]
	v_cmp_neq_f64_e64 s[0:1], 0, v[6:7]
	v_mov_b32_e32 v7, v3
	v_mov_b32_e32 v6, v2
	v_mov_b32_e32 v5, v1
	v_mov_b32_e32 v4, v0
	s_or_b64 vcc, vcc, s[0:1]
	v_addc_co_u32_e32 v20, vcc, 0, v2, vcc
	v_mov_b32_e32 v6, v20
	s_cbranch_execz .LBB10_86
	s_branch .LBB10_87
.LBB10_85:
                                        ; implicit-def: $vgpr4_vgpr5_vgpr6_vgpr7
.LBB10_86:
	v_mad_u64_u32 v[4:5], s[0:1], s30, v19, 0
	v_mad_u64_u32 v[5:6], s[0:1], s31, v19, v[5:6]
	v_lshlrev_b64 v[4:5], 4, v[4:5]
	v_add_co_u32_e32 v4, vcc, v16, v4
	v_addc_co_u32_e32 v5, vcc, v18, v5, vcc
	global_load_dwordx4 v[4:7], v[4:5], off offset:2048
	s_waitcnt vmcnt(0)
	v_cmp_neq_f64_e32 vcc, 0, v[4:5]
	v_cmp_neq_f64_e64 s[0:1], 0, v[6:7]
	s_or_b64 vcc, vcc, s[0:1]
	v_addc_co_u32_e32 v2, vcc, 0, v2, vcc
	v_mov_b32_e32 v7, v3
	v_mov_b32_e32 v6, v2
	v_mov_b32_e32 v5, v1
	v_mov_b32_e32 v4, v0
.LBB10_87:
	v_mov_b32_e32 v0, v4
	v_mov_b32_e32 v1, v5
	v_mov_b32_e32 v2, v6
	v_mov_b32_e32 v3, v7
.LBB10_88:
	s_or_b64 exec, exec, s[8:9]
	v_or_b32_e32 v19, 2, v8
	v_cmp_gt_i32_e32 vcc, s26, v19
	s_and_saveexec_b64 s[8:9], vcc
	s_cbranch_execz .LBB10_94
; %bb.89:
	s_andn2_b64 vcc, exec, s[2:3]
	s_cbranch_vccnz .LBB10_91
; %bb.90:
	global_load_dwordx4 v[4:7], v[12:13], off offset:32
	s_waitcnt vmcnt(0)
	v_cmp_neq_f64_e32 vcc, 0, v[4:5]
	v_cmp_neq_f64_e64 s[0:1], 0, v[6:7]
	v_mov_b32_e32 v7, v3
	v_mov_b32_e32 v6, v2
	v_mov_b32_e32 v5, v1
	v_mov_b32_e32 v4, v0
	s_or_b64 vcc, vcc, s[0:1]
	v_addc_co_u32_e32 v20, vcc, 0, v2, vcc
	v_mov_b32_e32 v6, v20
	s_cbranch_execz .LBB10_92
	s_branch .LBB10_93
.LBB10_91:
                                        ; implicit-def: $vgpr4_vgpr5_vgpr6_vgpr7
.LBB10_92:
	v_mad_u64_u32 v[4:5], s[0:1], s30, v19, 0
	v_mad_u64_u32 v[5:6], s[0:1], s31, v19, v[5:6]
	v_lshlrev_b64 v[4:5], 4, v[4:5]
	v_add_co_u32_e32 v4, vcc, v16, v4
	v_addc_co_u32_e32 v5, vcc, v18, v5, vcc
	global_load_dwordx4 v[4:7], v[4:5], off offset:2048
	s_waitcnt vmcnt(0)
	v_cmp_neq_f64_e32 vcc, 0, v[4:5]
	v_cmp_neq_f64_e64 s[0:1], 0, v[6:7]
	s_or_b64 vcc, vcc, s[0:1]
	v_addc_co_u32_e32 v2, vcc, 0, v2, vcc
	v_mov_b32_e32 v7, v3
	v_mov_b32_e32 v6, v2
	v_mov_b32_e32 v5, v1
	v_mov_b32_e32 v4, v0
.LBB10_93:
	v_mov_b32_e32 v0, v4
	v_mov_b32_e32 v1, v5
	v_mov_b32_e32 v2, v6
	v_mov_b32_e32 v3, v7
.LBB10_94:
	;; [unrolled: 46-line block ×3, first 2 shown]
	s_or_b64 exec, exec, s[8:9]
.LBB10_101:
	s_or_b64 exec, exec, s[6:7]
	v_or_b32_e32 v4, 0xc0, v10
	v_cmp_gt_i32_e32 vcc, s25, v4
	s_and_saveexec_b64 s[6:7], vcc
	s_cbranch_execz .LBB10_125
; %bb.102:
	v_ashrrev_i32_e32 v6, 31, v4
	v_mul_lo_u32 v7, s31, v4
	v_mad_u64_u32 v[4:5], s[0:1], s30, v4, 0
	v_mul_lo_u32 v6, s30, v6
	v_add3_u32 v5, v5, v6, v7
	v_lshlrev_b64 v[4:5], 4, v[4:5]
	v_mov_b32_e32 v6, s29
	v_add_co_u32_e32 v12, vcc, v9, v4
	v_addc_co_u32_e32 v13, vcc, v17, v5, vcc
	v_lshlrev_b64 v[4:5], 4, v[10:11]
	v_add_co_u32_e32 v9, vcc, s28, v4
	v_addc_co_u32_e32 v10, vcc, v6, v5, vcc
	v_cmp_gt_i32_e32 vcc, s26, v8
	s_and_saveexec_b64 s[8:9], vcc
	s_cbranch_execz .LBB10_106
; %bb.103:
	v_mov_b32_e32 v4, v12
	s_andn2_b64 vcc, exec, s[4:5]
	v_mov_b32_e32 v5, v13
	s_cbranch_vccnz .LBB10_105
; %bb.104:
	v_mad_u64_u32 v[4:5], s[0:1], s30, v8, 0
	v_mad_u64_u32 v[5:6], s[0:1], s31, v8, v[5:6]
	v_lshlrev_b64 v[4:5], 4, v[4:5]
	v_add_co_u32_e32 v4, vcc, v9, v4
	v_addc_co_u32_e32 v5, vcc, v10, v5, vcc
	v_add_co_u32_e32 v4, vcc, 0xc00, v4
	v_addc_co_u32_e32 v5, vcc, 0, v5, vcc
.LBB10_105:
	global_load_dwordx4 v[4:7], v[4:5], off
	s_waitcnt vmcnt(0)
	v_cmp_neq_f64_e32 vcc, 0, v[4:5]
	v_cmp_neq_f64_e64 s[0:1], 0, v[6:7]
	s_or_b64 vcc, vcc, s[0:1]
	v_addc_co_u32_e32 v3, vcc, 0, v3, vcc
.LBB10_106:
	s_or_b64 exec, exec, s[8:9]
	v_or_b32_e32 v11, 1, v8
	v_cndmask_b32_e64 v4, 0, 1, s[2:3]
	v_cmp_gt_i32_e32 vcc, s26, v11
	v_cmp_ne_u32_e64 s[0:1], 1, v4
	s_and_saveexec_b64 s[4:5], vcc
	s_cbranch_execz .LBB10_112
; %bb.107:
	s_and_b64 vcc, exec, s[0:1]
	s_cbranch_vccnz .LBB10_109
; %bb.108:
	global_load_dwordx4 v[4:7], v[12:13], off offset:16
	s_waitcnt vmcnt(0)
	v_cmp_neq_f64_e32 vcc, 0, v[4:5]
	v_cmp_neq_f64_e64 s[2:3], 0, v[6:7]
	v_mov_b32_e32 v7, v3
	v_mov_b32_e32 v6, v2
	;; [unrolled: 1-line block ×4, first 2 shown]
	s_or_b64 vcc, vcc, s[2:3]
	v_addc_co_u32_e32 v16, vcc, 0, v3, vcc
	v_mov_b32_e32 v7, v16
	s_cbranch_execz .LBB10_110
	s_branch .LBB10_111
.LBB10_109:
                                        ; implicit-def: $vgpr4_vgpr5_vgpr6_vgpr7
.LBB10_110:
	v_mad_u64_u32 v[4:5], s[2:3], s30, v11, 0
	v_mad_u64_u32 v[5:6], s[2:3], s31, v11, v[5:6]
	v_lshlrev_b64 v[4:5], 4, v[4:5]
	v_add_co_u32_e32 v4, vcc, v9, v4
	v_addc_co_u32_e32 v5, vcc, v10, v5, vcc
	global_load_dwordx4 v[4:7], v[4:5], off offset:3072
	s_waitcnt vmcnt(0)
	v_cmp_neq_f64_e32 vcc, 0, v[4:5]
	v_cmp_neq_f64_e64 s[2:3], 0, v[6:7]
	s_or_b64 vcc, vcc, s[2:3]
	v_addc_co_u32_e32 v3, vcc, 0, v3, vcc
	v_mov_b32_e32 v7, v3
	v_mov_b32_e32 v6, v2
	;; [unrolled: 1-line block ×4, first 2 shown]
.LBB10_111:
	v_mov_b32_e32 v0, v4
	v_mov_b32_e32 v1, v5
	;; [unrolled: 1-line block ×4, first 2 shown]
.LBB10_112:
	s_or_b64 exec, exec, s[4:5]
	v_or_b32_e32 v11, 2, v8
	v_cmp_gt_i32_e32 vcc, s26, v11
	s_and_saveexec_b64 s[4:5], vcc
	s_cbranch_execz .LBB10_118
; %bb.113:
	s_and_b64 vcc, exec, s[0:1]
	s_cbranch_vccnz .LBB10_115
; %bb.114:
	global_load_dwordx4 v[4:7], v[12:13], off offset:32
	s_waitcnt vmcnt(0)
	v_cmp_neq_f64_e32 vcc, 0, v[4:5]
	v_cmp_neq_f64_e64 s[2:3], 0, v[6:7]
	v_mov_b32_e32 v7, v3
	v_mov_b32_e32 v6, v2
	;; [unrolled: 1-line block ×4, first 2 shown]
	s_or_b64 vcc, vcc, s[2:3]
	v_addc_co_u32_e32 v16, vcc, 0, v3, vcc
	v_mov_b32_e32 v7, v16
	s_cbranch_execz .LBB10_116
	s_branch .LBB10_117
.LBB10_115:
                                        ; implicit-def: $vgpr4_vgpr5_vgpr6_vgpr7
.LBB10_116:
	v_mad_u64_u32 v[4:5], s[2:3], s30, v11, 0
	v_mad_u64_u32 v[5:6], s[2:3], s31, v11, v[5:6]
	v_lshlrev_b64 v[4:5], 4, v[4:5]
	v_add_co_u32_e32 v4, vcc, v9, v4
	v_addc_co_u32_e32 v5, vcc, v10, v5, vcc
	global_load_dwordx4 v[4:7], v[4:5], off offset:3072
	s_waitcnt vmcnt(0)
	v_cmp_neq_f64_e32 vcc, 0, v[4:5]
	v_cmp_neq_f64_e64 s[2:3], 0, v[6:7]
	s_or_b64 vcc, vcc, s[2:3]
	v_addc_co_u32_e32 v3, vcc, 0, v3, vcc
	v_mov_b32_e32 v7, v3
	v_mov_b32_e32 v6, v2
	;; [unrolled: 1-line block ×4, first 2 shown]
.LBB10_117:
	v_mov_b32_e32 v0, v4
	v_mov_b32_e32 v1, v5
	v_mov_b32_e32 v2, v6
	v_mov_b32_e32 v3, v7
.LBB10_118:
	s_or_b64 exec, exec, s[4:5]
	v_or_b32_e32 v8, 3, v8
	v_cmp_gt_i32_e32 vcc, s26, v8
	s_and_saveexec_b64 s[2:3], vcc
	s_cbranch_execz .LBB10_124
; %bb.119:
	s_and_b64 vcc, exec, s[0:1]
	s_cbranch_vccnz .LBB10_121
; %bb.120:
	global_load_dwordx4 v[4:7], v[12:13], off offset:48
	s_waitcnt vmcnt(0)
	v_cmp_neq_f64_e32 vcc, 0, v[4:5]
	v_cmp_neq_f64_e64 s[0:1], 0, v[6:7]
	v_mov_b32_e32 v7, v3
	v_mov_b32_e32 v6, v2
	;; [unrolled: 1-line block ×4, first 2 shown]
	s_or_b64 vcc, vcc, s[0:1]
	v_addc_co_u32_e32 v11, vcc, 0, v3, vcc
	v_mov_b32_e32 v7, v11
	s_cbranch_execz .LBB10_122
	s_branch .LBB10_123
.LBB10_121:
                                        ; implicit-def: $vgpr4_vgpr5_vgpr6_vgpr7
.LBB10_122:
	v_mad_u64_u32 v[4:5], s[0:1], s30, v8, 0
	v_mad_u64_u32 v[5:6], s[0:1], s31, v8, v[5:6]
	v_lshlrev_b64 v[4:5], 4, v[4:5]
	v_add_co_u32_e32 v4, vcc, v9, v4
	v_addc_co_u32_e32 v5, vcc, v10, v5, vcc
	global_load_dwordx4 v[4:7], v[4:5], off offset:3072
	s_waitcnt vmcnt(0)
	v_cmp_neq_f64_e32 vcc, 0, v[4:5]
	v_cmp_neq_f64_e64 s[0:1], 0, v[6:7]
	s_or_b64 vcc, vcc, s[0:1]
	v_addc_co_u32_e32 v3, vcc, 0, v3, vcc
	v_mov_b32_e32 v7, v3
	v_mov_b32_e32 v6, v2
	v_mov_b32_e32 v5, v1
	v_mov_b32_e32 v4, v0
.LBB10_123:
	v_mov_b32_e32 v0, v4
	v_mov_b32_e32 v1, v5
	;; [unrolled: 1-line block ×4, first 2 shown]
.LBB10_124:
	s_or_b64 exec, exec, s[2:3]
.LBB10_125:
	s_or_b64 exec, exec, s[6:7]
.LBB10_126:
	v_lshlrev_b32_e32 v4, 4, v14
	v_lshlrev_b32_e32 v5, 2, v15
	s_mov_b32 s0, 0x7ffffc00
	v_and_or_b32 v4, v4, s0, v5
	s_movk_i32 s0, 0x100
	v_cmp_gt_u32_e32 vcc, s0, v14
	ds_write2st64_b32 v4, v0, v1 offset1:1
	ds_write2st64_b32 v4, v2, v3 offset0:2 offset1:3
	s_waitcnt lgkmcnt(0)
	s_barrier
	s_and_saveexec_b64 s[0:1], vcc
	s_cbranch_execz .LBB10_129
; %bb.127:
	v_lshlrev_b32_e32 v11, 2, v14
	ds_read2st64_b32 v[1:2], v11 offset1:4
	ds_read2st64_b32 v[3:4], v11 offset0:8 offset1:12
	ds_read2st64_b32 v[5:6], v11 offset0:16 offset1:20
	;; [unrolled: 1-line block ×3, first 2 shown]
	v_add_u32_e32 v0, s27, v14
	s_waitcnt lgkmcnt(3)
	v_add_u32_e32 v1, v1, v2
	s_waitcnt lgkmcnt(2)
	v_add3_u32 v1, v1, v3, v4
	s_waitcnt lgkmcnt(1)
	v_add3_u32 v12, v1, v5, v6
	ds_read2st64_b32 v[1:2], v11 offset0:32 offset1:36
	ds_read2st64_b32 v[3:4], v11 offset0:40 offset1:44
	;; [unrolled: 1-line block ×4, first 2 shown]
	s_waitcnt lgkmcnt(4)
	v_add3_u32 v7, v12, v7, v8
	s_waitcnt lgkmcnt(3)
	v_add3_u32 v1, v7, v1, v2
	;; [unrolled: 2-line block ×5, first 2 shown]
	v_cmp_gt_i32_e32 vcc, s25, v0
	ds_write_b32 v11, v2
	s_and_b64 exec, exec, vcc
	s_cbranch_execz .LBB10_129
; %bb.128:
	v_ashrrev_i32_e32 v1, 31, v0
	v_lshlrev_b64 v[0:1], 2, v[0:1]
	v_mov_b32_e32 v3, s35
	v_add_co_u32_e32 v0, vcc, s34, v0
	v_addc_co_u32_e32 v1, vcc, v3, v1, vcc
	global_store_dword v[0:1], v2, off
.LBB10_129:
	s_endpgm
	.section	.rodata,"a",@progbits
	.p2align	6, 0x0
	.amdhsa_kernel _ZN9rocsparseL14nnz_kernel_rowILi64ELi16Eii21rocsparse_complex_numIdEEEv16rocsparse_order_T2_S4_PKT3_lPT1_
		.amdhsa_group_segment_fixed_size 16384
		.amdhsa_private_segment_fixed_size 0
		.amdhsa_kernarg_size 296
		.amdhsa_user_sgpr_count 6
		.amdhsa_user_sgpr_private_segment_buffer 1
		.amdhsa_user_sgpr_dispatch_ptr 0
		.amdhsa_user_sgpr_queue_ptr 0
		.amdhsa_user_sgpr_kernarg_segment_ptr 1
		.amdhsa_user_sgpr_dispatch_id 0
		.amdhsa_user_sgpr_flat_scratch_init 0
		.amdhsa_user_sgpr_private_segment_size 0
		.amdhsa_uses_dynamic_stack 0
		.amdhsa_system_sgpr_private_segment_wavefront_offset 0
		.amdhsa_system_sgpr_workgroup_id_x 1
		.amdhsa_system_sgpr_workgroup_id_y 0
		.amdhsa_system_sgpr_workgroup_id_z 0
		.amdhsa_system_sgpr_workgroup_info 0
		.amdhsa_system_vgpr_workitem_id 1
		.amdhsa_next_free_vgpr 46
		.amdhsa_next_free_sgpr 61
		.amdhsa_reserve_vcc 1
		.amdhsa_reserve_flat_scratch 0
		.amdhsa_float_round_mode_32 0
		.amdhsa_float_round_mode_16_64 0
		.amdhsa_float_denorm_mode_32 3
		.amdhsa_float_denorm_mode_16_64 3
		.amdhsa_dx10_clamp 1
		.amdhsa_ieee_mode 1
		.amdhsa_fp16_overflow 0
		.amdhsa_exception_fp_ieee_invalid_op 0
		.amdhsa_exception_fp_denorm_src 0
		.amdhsa_exception_fp_ieee_div_zero 0
		.amdhsa_exception_fp_ieee_overflow 0
		.amdhsa_exception_fp_ieee_underflow 0
		.amdhsa_exception_fp_ieee_inexact 0
		.amdhsa_exception_int_div_zero 0
	.end_amdhsa_kernel
	.section	.text._ZN9rocsparseL14nnz_kernel_rowILi64ELi16Eii21rocsparse_complex_numIdEEEv16rocsparse_order_T2_S4_PKT3_lPT1_,"axG",@progbits,_ZN9rocsparseL14nnz_kernel_rowILi64ELi16Eii21rocsparse_complex_numIdEEEv16rocsparse_order_T2_S4_PKT3_lPT1_,comdat
.Lfunc_end10:
	.size	_ZN9rocsparseL14nnz_kernel_rowILi64ELi16Eii21rocsparse_complex_numIdEEEv16rocsparse_order_T2_S4_PKT3_lPT1_, .Lfunc_end10-_ZN9rocsparseL14nnz_kernel_rowILi64ELi16Eii21rocsparse_complex_numIdEEEv16rocsparse_order_T2_S4_PKT3_lPT1_
                                        ; -- End function
	.set _ZN9rocsparseL14nnz_kernel_rowILi64ELi16Eii21rocsparse_complex_numIdEEEv16rocsparse_order_T2_S4_PKT3_lPT1_.num_vgpr, 46
	.set _ZN9rocsparseL14nnz_kernel_rowILi64ELi16Eii21rocsparse_complex_numIdEEEv16rocsparse_order_T2_S4_PKT3_lPT1_.num_agpr, 0
	.set _ZN9rocsparseL14nnz_kernel_rowILi64ELi16Eii21rocsparse_complex_numIdEEEv16rocsparse_order_T2_S4_PKT3_lPT1_.numbered_sgpr, 46
	.set _ZN9rocsparseL14nnz_kernel_rowILi64ELi16Eii21rocsparse_complex_numIdEEEv16rocsparse_order_T2_S4_PKT3_lPT1_.num_named_barrier, 0
	.set _ZN9rocsparseL14nnz_kernel_rowILi64ELi16Eii21rocsparse_complex_numIdEEEv16rocsparse_order_T2_S4_PKT3_lPT1_.private_seg_size, 0
	.set _ZN9rocsparseL14nnz_kernel_rowILi64ELi16Eii21rocsparse_complex_numIdEEEv16rocsparse_order_T2_S4_PKT3_lPT1_.uses_vcc, 1
	.set _ZN9rocsparseL14nnz_kernel_rowILi64ELi16Eii21rocsparse_complex_numIdEEEv16rocsparse_order_T2_S4_PKT3_lPT1_.uses_flat_scratch, 0
	.set _ZN9rocsparseL14nnz_kernel_rowILi64ELi16Eii21rocsparse_complex_numIdEEEv16rocsparse_order_T2_S4_PKT3_lPT1_.has_dyn_sized_stack, 0
	.set _ZN9rocsparseL14nnz_kernel_rowILi64ELi16Eii21rocsparse_complex_numIdEEEv16rocsparse_order_T2_S4_PKT3_lPT1_.has_recursion, 0
	.set _ZN9rocsparseL14nnz_kernel_rowILi64ELi16Eii21rocsparse_complex_numIdEEEv16rocsparse_order_T2_S4_PKT3_lPT1_.has_indirect_call, 0
	.section	.AMDGPU.csdata,"",@progbits
; Kernel info:
; codeLenInByte = 5968
; TotalNumSgprs: 50
; NumVgprs: 46
; ScratchSize: 0
; MemoryBound: 0
; FloatMode: 240
; IeeeMode: 1
; LDSByteSize: 16384 bytes/workgroup (compile time only)
; SGPRBlocks: 8
; VGPRBlocks: 11
; NumSGPRsForWavesPerEU: 65
; NumVGPRsForWavesPerEU: 46
; Occupancy: 5
; WaveLimiterHint : 0
; COMPUTE_PGM_RSRC2:SCRATCH_EN: 0
; COMPUTE_PGM_RSRC2:USER_SGPR: 6
; COMPUTE_PGM_RSRC2:TRAP_HANDLER: 0
; COMPUTE_PGM_RSRC2:TGID_X_EN: 1
; COMPUTE_PGM_RSRC2:TGID_Y_EN: 0
; COMPUTE_PGM_RSRC2:TGID_Z_EN: 0
; COMPUTE_PGM_RSRC2:TIDIG_COMP_CNT: 1
	.section	.text._ZN9rocsparseL14nnz_kernel_colILi256Eii21rocsparse_complex_numIdEEEv16rocsparse_order_T1_S4_PKT2_lPT0_,"axG",@progbits,_ZN9rocsparseL14nnz_kernel_colILi256Eii21rocsparse_complex_numIdEEEv16rocsparse_order_T1_S4_PKT2_lPT0_,comdat
	.globl	_ZN9rocsparseL14nnz_kernel_colILi256Eii21rocsparse_complex_numIdEEEv16rocsparse_order_T1_S4_PKT2_lPT0_ ; -- Begin function _ZN9rocsparseL14nnz_kernel_colILi256Eii21rocsparse_complex_numIdEEEv16rocsparse_order_T1_S4_PKT2_lPT0_
	.p2align	8
	.type	_ZN9rocsparseL14nnz_kernel_colILi256Eii21rocsparse_complex_numIdEEEv16rocsparse_order_T1_S4_PKT2_lPT0_,@function
_ZN9rocsparseL14nnz_kernel_colILi256Eii21rocsparse_complex_numIdEEEv16rocsparse_order_T1_S4_PKT2_lPT0_: ; @_ZN9rocsparseL14nnz_kernel_colILi256Eii21rocsparse_complex_numIdEEEv16rocsparse_order_T1_S4_PKT2_lPT0_
; %bb.0:
	s_load_dwordx2 s[12:13], s[4:5], 0x0
	s_load_dwordx4 s[8:11], s[4:5], 0x10
	s_waitcnt lgkmcnt(0)
	s_ashr_i32 s0, s13, 31
	s_lshr_b32 s0, s0, 24
	s_add_i32 s0, s13, s0
	s_and_b32 s14, s0, 0xffffff00
	s_cmp_eq_u32 s12, 1
	s_cbranch_scc1 .LBB11_6
; %bb.1:
	s_cmpk_lt_i32 s13, 0x100
	v_mov_b32_e32 v3, 0
	s_cbranch_scc1 .LBB11_7
; %bb.2:
	v_mad_u64_u32 v[1:2], s[0:1], s10, v0, 0
	s_ashr_i32 s7, s6, 31
	v_mad_u64_u32 v[2:3], s[0:1], s11, v0, v[2:3]
	s_lshl_b64 s[0:1], s[6:7], 4
	s_add_u32 s0, s8, s0
	v_lshlrev_b64 v[1:2], 4, v[1:2]
	s_addc_u32 s1, s9, s1
	v_mov_b32_e32 v3, s1
	v_add_co_u32_e32 v1, vcc, s0, v1
	v_addc_co_u32_e32 v2, vcc, v3, v2, vcc
	v_add_co_u32_e32 v1, vcc, 8, v1
	s_lshl_b64 s[2:3], s[10:11], 12
	v_addc_co_u32_e32 v2, vcc, 0, v2, vcc
	s_mov_b32 s7, 0
	v_mov_b32_e32 v3, 0
	v_mov_b32_e32 v4, s3
	s_branch .LBB11_4
.LBB11_3:                               ;   in Loop: Header=BB11_4 Depth=1
	s_or_b64 exec, exec, s[16:17]
	s_addk_i32 s7, 0x100
	v_add_co_u32_e32 v1, vcc, s2, v1
	s_cmp_ge_i32 s7, s14
	v_addc_co_u32_e32 v2, vcc, v2, v4, vcc
	s_cbranch_scc1 .LBB11_7
.LBB11_4:                               ; =>This Inner Loop Header: Depth=1
	v_add_u32_e32 v5, s7, v0
	v_cmp_gt_i32_e32 vcc, s13, v5
	s_and_saveexec_b64 s[16:17], vcc
	s_cbranch_execz .LBB11_3
; %bb.5:                                ;   in Loop: Header=BB11_4 Depth=1
	global_load_dwordx4 v[5:8], v[1:2], off offset:-8
	s_waitcnt vmcnt(0)
	v_cmp_neq_f64_e32 vcc, 0, v[5:6]
	v_cmp_neq_f64_e64 s[0:1], 0, v[7:8]
	s_or_b64 vcc, vcc, s[0:1]
	v_addc_co_u32_e32 v3, vcc, 0, v3, vcc
	s_branch .LBB11_3
.LBB11_6:
	s_mov_b64 s[16:17], 0
                                        ; implicit-def: $vgpr3
                                        ; implicit-def: $vgpr1_vgpr2
	s_cbranch_execnz .LBB11_10
	s_branch .LBB11_16
.LBB11_7:
	v_add_u32_e32 v4, s14, v0
	v_cmp_gt_i32_e32 vcc, s13, v4
	s_mov_b64 s[0:1], 0
	s_mov_b64 s[16:17], 0
                                        ; implicit-def: $vgpr1_vgpr2
	s_and_saveexec_b64 s[2:3], vcc
	s_xor_b64 s[2:3], exec, s[2:3]
	s_cbranch_execz .LBB11_9
; %bb.8:
	v_ashrrev_i32_e32 v1, 31, v4
	v_mul_lo_u32 v5, s11, v4
	v_mul_lo_u32 v6, s10, v1
	v_mad_u64_u32 v[1:2], s[18:19], s10, v4, 0
	s_ashr_i32 s7, s6, 31
	v_mov_b32_e32 v4, s9
	v_add3_u32 v2, v2, v6, v5
	v_lshlrev_b64 v[1:2], 4, v[1:2]
	s_lshl_b64 s[18:19], s[6:7], 4
	v_add_co_u32_e32 v1, vcc, s8, v1
	v_addc_co_u32_e32 v2, vcc, v4, v2, vcc
	v_mov_b32_e32 v4, s19
	v_add_co_u32_e32 v1, vcc, s18, v1
	s_mov_b64 s[16:17], exec
	v_addc_co_u32_e32 v2, vcc, v2, v4, vcc
.LBB11_9:
	s_or_b64 exec, exec, s[2:3]
	s_and_b64 vcc, exec, s[0:1]
	s_cbranch_vccz .LBB11_16
.LBB11_10:
	s_ashr_i32 s0, s6, 31
	s_mul_hi_u32 s1, s10, s6
	s_mul_i32 s0, s10, s0
	s_add_i32 s0, s1, s0
	s_mul_i32 s1, s11, s6
	v_cmp_gt_i32_e32 vcc, s13, v0
	s_add_i32 s11, s0, s1
	v_cndmask_b32_e32 v1, 0, v0, vcc
	s_mul_i32 s10, s10, s6
	v_mov_b32_e32 v3, 0
	s_cmpk_lt_i32 s13, 0x100
	v_lshlrev_b32_e32 v4, 4, v1
	s_cbranch_scc1 .LBB11_13
; %bb.11:
	s_lshl_b64 s[0:1], s[10:11], 4
	s_add_u32 s0, s8, s0
	s_addc_u32 s1, s9, s1
	v_mov_b32_e32 v1, s1
	v_add_co_u32_e32 v2, vcc, s0, v4
	v_addc_co_u32_e32 v5, vcc, 0, v1, vcc
	v_add_co_u32_e32 v1, vcc, 8, v2
	v_mov_b32_e32 v3, 0
	v_addc_co_u32_e32 v2, vcc, 0, v5, vcc
	s_mov_b32 s7, 0
.LBB11_12:                              ; =>This Inner Loop Header: Depth=1
	global_load_dwordx4 v[5:8], v[1:2], off offset:-8
	v_add_co_u32_e32 v1, vcc, 0x1000, v1
	v_addc_co_u32_e32 v2, vcc, 0, v2, vcc
	s_addk_i32 s7, 0x100
	s_waitcnt vmcnt(0)
	v_cmp_neq_f64_e64 s[0:1], 0, v[5:6]
	v_cmp_neq_f64_e64 s[2:3], 0, v[7:8]
	s_or_b64 vcc, s[0:1], s[2:3]
	s_cmp_ge_i32 s7, s14
	v_addc_co_u32_e32 v3, vcc, 0, v3, vcc
	s_cbranch_scc0 .LBB11_12
.LBB11_13:
	v_add_u32_e32 v1, s14, v0
	v_cmp_gt_i32_e32 vcc, s13, v1
                                        ; implicit-def: $vgpr1_vgpr2
	s_and_saveexec_b64 s[0:1], vcc
	s_cbranch_execz .LBB11_15
; %bb.14:
	s_lshl_b64 s[2:3], s[10:11], 4
	s_add_u32 s2, s8, s2
	s_addc_u32 s3, s9, s3
	v_mov_b32_e32 v1, s3
	v_add_co_u32_e32 v2, vcc, s2, v4
	s_ashr_i32 s15, s14, 31
	v_addc_co_u32_e32 v4, vcc, 0, v1, vcc
	s_lshl_b64 s[2:3], s[14:15], 4
	v_mov_b32_e32 v5, s3
	v_add_co_u32_e32 v1, vcc, s2, v2
	v_addc_co_u32_e32 v2, vcc, v4, v5, vcc
	s_or_b64 s[16:17], s[16:17], exec
.LBB11_15:
	s_or_b64 exec, exec, s[0:1]
.LBB11_16:
	s_and_saveexec_b64 s[2:3], s[16:17]
	s_cbranch_execz .LBB11_18
; %bb.17:
	global_load_dwordx4 v[4:7], v[1:2], off
	s_waitcnt vmcnt(0)
	v_cmp_neq_f64_e32 vcc, 0, v[4:5]
	v_cmp_neq_f64_e64 s[0:1], 0, v[6:7]
	s_or_b64 vcc, vcc, s[0:1]
	v_addc_co_u32_e32 v3, vcc, 0, v3, vcc
.LBB11_18:
	s_or_b64 exec, exec, s[2:3]
	v_lshlrev_b32_e32 v1, 2, v0
	s_cmpk_lt_i32 s13, 0x100
	s_mov_b64 s[0:1], -1
	v_cmp_eq_u32_e32 vcc, 0, v0
	ds_write_b32 v1, v3
	s_waitcnt lgkmcnt(0)
	s_cbranch_scc1 .LBB11_22
; %bb.19:
	s_and_b64 vcc, exec, s[0:1]
	s_cbranch_vccnz .LBB11_32
.LBB11_20:
	v_cmp_eq_u32_e32 vcc, 0, v0
	s_and_saveexec_b64 s[0:1], vcc
	s_cbranch_execnz .LBB11_49
.LBB11_21:
	s_endpgm
.LBB11_22:
	s_cmp_gt_i32 s13, 1
	s_cselect_b64 s[0:1], -1, 0
	s_mov_b32 s3, 1
	s_and_b64 s[8:9], vcc, s[0:1]
	s_barrier
	s_and_saveexec_b64 s[0:1], s[8:9]
	s_cbranch_execz .LBB11_31
; %bb.23:
	v_mov_b32_e32 v2, 0
	ds_read_b32 v2, v2
	s_add_i32 s2, s13, -1
	s_add_i32 s7, s13, -2
	s_cmp_lt_u32 s7, 7
	s_cbranch_scc1 .LBB11_27
; %bb.24:
	s_and_b32 s3, s2, -8
	s_mov_b32 s8, 0
	s_mov_b32 s7, 4
.LBB11_25:                              ; =>This Inner Loop Header: Depth=1
	v_mov_b32_e32 v9, s7
	ds_read2_b32 v[3:4], v9 offset1:1
	ds_read2_b32 v[5:6], v9 offset0:2 offset1:3
	ds_read2_b32 v[7:8], v9 offset0:4 offset1:5
	;; [unrolled: 1-line block ×3, first 2 shown]
	s_mov_b32 s9, s8
	s_waitcnt lgkmcnt(3)
	v_add_u32_e32 v2, v2, v3
	v_add_u32_e32 v2, v2, v4
	s_waitcnt lgkmcnt(2)
	v_add_u32_e32 v2, v2, v5
	v_add_u32_e32 v2, v2, v6
	;; [unrolled: 3-line block ×3, first 2 shown]
	s_add_i32 s7, s7, 32
	s_add_i32 s8, s8, 8
	s_waitcnt lgkmcnt(0)
	v_add_u32_e32 v2, v2, v9
	s_cmp_lg_u32 s3, s8
	v_add_u32_e32 v2, v2, v10
	s_cbranch_scc1 .LBB11_25
; %bb.26:
	s_add_i32 s3, s9, 9
.LBB11_27:
	s_and_b32 s2, s2, 7
	s_cmp_eq_u32 s2, 0
	s_cbranch_scc1 .LBB11_30
; %bb.28:
	s_lshl_b32 s3, s3, 2
.LBB11_29:                              ; =>This Inner Loop Header: Depth=1
	v_mov_b32_e32 v3, s3
	ds_read_b32 v3, v3
	s_add_i32 s3, s3, 4
	s_add_i32 s2, s2, -1
	s_cmp_lg_u32 s2, 0
	s_waitcnt lgkmcnt(0)
	v_add_u32_e32 v2, v2, v3
	s_cbranch_scc1 .LBB11_29
.LBB11_30:
	v_mov_b32_e32 v3, 0
	s_waitcnt lgkmcnt(0)
	ds_write_b32 v3, v2
.LBB11_31:
	s_or_b64 exec, exec, s[0:1]
	s_waitcnt lgkmcnt(0)
	s_barrier
	s_branch .LBB11_20
.LBB11_32:
	s_movk_i32 s0, 0x80
	v_cmp_gt_u32_e32 vcc, s0, v0
	s_barrier
	s_and_saveexec_b64 s[0:1], vcc
	s_cbranch_execz .LBB11_34
; %bb.33:
	ds_read2st64_b32 v[2:3], v1 offset1:2
	s_waitcnt lgkmcnt(0)
	v_add_u32_e32 v2, v2, v3
	ds_write_b32 v1, v2
.LBB11_34:
	s_or_b64 exec, exec, s[0:1]
	v_cmp_gt_u32_e32 vcc, 64, v0
	s_waitcnt lgkmcnt(0)
	s_barrier
	s_and_saveexec_b64 s[0:1], vcc
	s_cbranch_execz .LBB11_36
; %bb.35:
	ds_read2st64_b32 v[2:3], v1 offset1:1
	s_waitcnt lgkmcnt(0)
	v_add_u32_e32 v2, v2, v3
	ds_write_b32 v1, v2
.LBB11_36:
	s_or_b64 exec, exec, s[0:1]
	v_cmp_gt_u32_e32 vcc, 32, v0
	s_waitcnt lgkmcnt(0)
	s_barrier
	s_and_saveexec_b64 s[0:1], vcc
	s_cbranch_execz .LBB11_38
; %bb.37:
	ds_read2_b32 v[2:3], v1 offset1:32
	s_waitcnt lgkmcnt(0)
	v_add_u32_e32 v2, v2, v3
	ds_write_b32 v1, v2
.LBB11_38:
	s_or_b64 exec, exec, s[0:1]
	v_cmp_gt_u32_e32 vcc, 16, v0
	s_waitcnt lgkmcnt(0)
	s_barrier
	s_and_saveexec_b64 s[0:1], vcc
	s_cbranch_execz .LBB11_40
; %bb.39:
	ds_read2_b32 v[2:3], v1 offset1:16
	s_waitcnt lgkmcnt(0)
	v_add_u32_e32 v2, v2, v3
	ds_write_b32 v1, v2
.LBB11_40:
	s_or_b64 exec, exec, s[0:1]
	v_cmp_gt_u32_e32 vcc, 8, v0
	s_waitcnt lgkmcnt(0)
	s_barrier
	s_and_saveexec_b64 s[0:1], vcc
	s_cbranch_execz .LBB11_42
; %bb.41:
	ds_read2_b32 v[2:3], v1 offset1:8
	s_waitcnt lgkmcnt(0)
	v_add_u32_e32 v2, v2, v3
	ds_write_b32 v1, v2
.LBB11_42:
	s_or_b64 exec, exec, s[0:1]
	v_cmp_gt_u32_e32 vcc, 4, v0
	s_waitcnt lgkmcnt(0)
	s_barrier
	s_and_saveexec_b64 s[0:1], vcc
	s_cbranch_execz .LBB11_44
; %bb.43:
	ds_read2_b32 v[2:3], v1 offset1:4
	s_waitcnt lgkmcnt(0)
	v_add_u32_e32 v2, v2, v3
	ds_write_b32 v1, v2
.LBB11_44:
	s_or_b64 exec, exec, s[0:1]
	v_cmp_gt_u32_e32 vcc, 2, v0
	s_waitcnt lgkmcnt(0)
	s_barrier
	s_and_saveexec_b64 s[0:1], vcc
	s_cbranch_execz .LBB11_46
; %bb.45:
	ds_read2_b32 v[2:3], v1 offset1:2
	s_waitcnt lgkmcnt(0)
	v_add_u32_e32 v2, v2, v3
	ds_write_b32 v1, v2
.LBB11_46:
	s_or_b64 exec, exec, s[0:1]
	v_cmp_eq_u32_e32 vcc, 0, v0
	s_waitcnt lgkmcnt(0)
	s_barrier
	s_and_saveexec_b64 s[0:1], vcc
	s_cbranch_execz .LBB11_48
; %bb.47:
	v_mov_b32_e32 v3, 0
	ds_read_b64 v[1:2], v3
	s_waitcnt lgkmcnt(0)
	v_add_u32_e32 v1, v1, v2
	ds_write_b32 v3, v1
.LBB11_48:
	s_or_b64 exec, exec, s[0:1]
	s_waitcnt lgkmcnt(0)
	s_barrier
	v_cmp_eq_u32_e32 vcc, 0, v0
	s_and_saveexec_b64 s[0:1], vcc
	s_cbranch_execz .LBB11_21
.LBB11_49:
	s_load_dwordx2 s[0:1], s[4:5], 0x20
	v_mov_b32_e32 v0, 0
	ds_read_b32 v1, v0
	s_ashr_i32 s7, s6, 31
	s_lshl_b64 s[2:3], s[6:7], 2
	s_waitcnt lgkmcnt(0)
	s_add_u32 s0, s0, s2
	s_addc_u32 s1, s1, s3
	global_store_dword v0, v1, s[0:1]
	s_endpgm
	.section	.rodata,"a",@progbits
	.p2align	6, 0x0
	.amdhsa_kernel _ZN9rocsparseL14nnz_kernel_colILi256Eii21rocsparse_complex_numIdEEEv16rocsparse_order_T1_S4_PKT2_lPT0_
		.amdhsa_group_segment_fixed_size 1024
		.amdhsa_private_segment_fixed_size 0
		.amdhsa_kernarg_size 40
		.amdhsa_user_sgpr_count 6
		.amdhsa_user_sgpr_private_segment_buffer 1
		.amdhsa_user_sgpr_dispatch_ptr 0
		.amdhsa_user_sgpr_queue_ptr 0
		.amdhsa_user_sgpr_kernarg_segment_ptr 1
		.amdhsa_user_sgpr_dispatch_id 0
		.amdhsa_user_sgpr_flat_scratch_init 0
		.amdhsa_user_sgpr_private_segment_size 0
		.amdhsa_uses_dynamic_stack 0
		.amdhsa_system_sgpr_private_segment_wavefront_offset 0
		.amdhsa_system_sgpr_workgroup_id_x 1
		.amdhsa_system_sgpr_workgroup_id_y 0
		.amdhsa_system_sgpr_workgroup_id_z 0
		.amdhsa_system_sgpr_workgroup_info 0
		.amdhsa_system_vgpr_workitem_id 0
		.amdhsa_next_free_vgpr 11
		.amdhsa_next_free_sgpr 20
		.amdhsa_reserve_vcc 1
		.amdhsa_reserve_flat_scratch 0
		.amdhsa_float_round_mode_32 0
		.amdhsa_float_round_mode_16_64 0
		.amdhsa_float_denorm_mode_32 3
		.amdhsa_float_denorm_mode_16_64 3
		.amdhsa_dx10_clamp 1
		.amdhsa_ieee_mode 1
		.amdhsa_fp16_overflow 0
		.amdhsa_exception_fp_ieee_invalid_op 0
		.amdhsa_exception_fp_denorm_src 0
		.amdhsa_exception_fp_ieee_div_zero 0
		.amdhsa_exception_fp_ieee_overflow 0
		.amdhsa_exception_fp_ieee_underflow 0
		.amdhsa_exception_fp_ieee_inexact 0
		.amdhsa_exception_int_div_zero 0
	.end_amdhsa_kernel
	.section	.text._ZN9rocsparseL14nnz_kernel_colILi256Eii21rocsparse_complex_numIdEEEv16rocsparse_order_T1_S4_PKT2_lPT0_,"axG",@progbits,_ZN9rocsparseL14nnz_kernel_colILi256Eii21rocsparse_complex_numIdEEEv16rocsparse_order_T1_S4_PKT2_lPT0_,comdat
.Lfunc_end11:
	.size	_ZN9rocsparseL14nnz_kernel_colILi256Eii21rocsparse_complex_numIdEEEv16rocsparse_order_T1_S4_PKT2_lPT0_, .Lfunc_end11-_ZN9rocsparseL14nnz_kernel_colILi256Eii21rocsparse_complex_numIdEEEv16rocsparse_order_T1_S4_PKT2_lPT0_
                                        ; -- End function
	.set _ZN9rocsparseL14nnz_kernel_colILi256Eii21rocsparse_complex_numIdEEEv16rocsparse_order_T1_S4_PKT2_lPT0_.num_vgpr, 11
	.set _ZN9rocsparseL14nnz_kernel_colILi256Eii21rocsparse_complex_numIdEEEv16rocsparse_order_T1_S4_PKT2_lPT0_.num_agpr, 0
	.set _ZN9rocsparseL14nnz_kernel_colILi256Eii21rocsparse_complex_numIdEEEv16rocsparse_order_T1_S4_PKT2_lPT0_.numbered_sgpr, 20
	.set _ZN9rocsparseL14nnz_kernel_colILi256Eii21rocsparse_complex_numIdEEEv16rocsparse_order_T1_S4_PKT2_lPT0_.num_named_barrier, 0
	.set _ZN9rocsparseL14nnz_kernel_colILi256Eii21rocsparse_complex_numIdEEEv16rocsparse_order_T1_S4_PKT2_lPT0_.private_seg_size, 0
	.set _ZN9rocsparseL14nnz_kernel_colILi256Eii21rocsparse_complex_numIdEEEv16rocsparse_order_T1_S4_PKT2_lPT0_.uses_vcc, 1
	.set _ZN9rocsparseL14nnz_kernel_colILi256Eii21rocsparse_complex_numIdEEEv16rocsparse_order_T1_S4_PKT2_lPT0_.uses_flat_scratch, 0
	.set _ZN9rocsparseL14nnz_kernel_colILi256Eii21rocsparse_complex_numIdEEEv16rocsparse_order_T1_S4_PKT2_lPT0_.has_dyn_sized_stack, 0
	.set _ZN9rocsparseL14nnz_kernel_colILi256Eii21rocsparse_complex_numIdEEEv16rocsparse_order_T1_S4_PKT2_lPT0_.has_recursion, 0
	.set _ZN9rocsparseL14nnz_kernel_colILi256Eii21rocsparse_complex_numIdEEEv16rocsparse_order_T1_S4_PKT2_lPT0_.has_indirect_call, 0
	.section	.AMDGPU.csdata,"",@progbits
; Kernel info:
; codeLenInByte = 1388
; TotalNumSgprs: 24
; NumVgprs: 11
; ScratchSize: 0
; MemoryBound: 0
; FloatMode: 240
; IeeeMode: 1
; LDSByteSize: 1024 bytes/workgroup (compile time only)
; SGPRBlocks: 2
; VGPRBlocks: 2
; NumSGPRsForWavesPerEU: 24
; NumVGPRsForWavesPerEU: 11
; Occupancy: 10
; WaveLimiterHint : 0
; COMPUTE_PGM_RSRC2:SCRATCH_EN: 0
; COMPUTE_PGM_RSRC2:USER_SGPR: 6
; COMPUTE_PGM_RSRC2:TRAP_HANDLER: 0
; COMPUTE_PGM_RSRC2:TGID_X_EN: 1
; COMPUTE_PGM_RSRC2:TGID_Y_EN: 0
; COMPUTE_PGM_RSRC2:TGID_Z_EN: 0
; COMPUTE_PGM_RSRC2:TIDIG_COMP_CNT: 0
	.section	.text._ZN9rocsparseL14nnz_kernel_rowILi64ELi16Eli18rocsparse_bfloat16EEv16rocsparse_order_T2_S3_PKT3_lPT1_,"axG",@progbits,_ZN9rocsparseL14nnz_kernel_rowILi64ELi16Eli18rocsparse_bfloat16EEv16rocsparse_order_T2_S3_PKT3_lPT1_,comdat
	.globl	_ZN9rocsparseL14nnz_kernel_rowILi64ELi16Eli18rocsparse_bfloat16EEv16rocsparse_order_T2_S3_PKT3_lPT1_ ; -- Begin function _ZN9rocsparseL14nnz_kernel_rowILi64ELi16Eli18rocsparse_bfloat16EEv16rocsparse_order_T2_S3_PKT3_lPT1_
	.p2align	8
	.type	_ZN9rocsparseL14nnz_kernel_rowILi64ELi16Eli18rocsparse_bfloat16EEv16rocsparse_order_T2_S3_PKT3_lPT1_,@function
_ZN9rocsparseL14nnz_kernel_rowILi64ELi16Eli18rocsparse_bfloat16EEv16rocsparse_order_T2_S3_PKT3_lPT1_: ; @_ZN9rocsparseL14nnz_kernel_rowILi64ELi16Eli18rocsparse_bfloat16EEv16rocsparse_order_T2_S3_PKT3_lPT1_
; %bb.0:
	s_load_dword s0, s[4:5], 0x34
	s_load_dwordx2 s[20:21], s[4:5], 0x20
	s_load_dwordx8 s[12:19], s[4:5], 0x0
	s_waitcnt lgkmcnt(0)
	s_lshl_b32 s15, s6, 8
	s_and_b32 s0, s0, 0xffff
	v_mad_u32_u24 v22, v1, s0, v0
	s_ashr_i32 s0, s14, 31
	s_lshr_b32 s0, s0, 26
	v_and_b32_e32 v23, 63, v22
	s_add_i32 s33, s14, s0
	v_lshrrev_b32_e32 v0, 4, v22
	v_or_b32_e32 v18, s15, v23
	s_andn2_b32 s33, s33, 63
	v_and_b32_e32 v16, 0x7ffffc, v0
	v_mov_b32_e32 v0, 0
	v_cmp_gt_i32_e32 vcc, s33, v16
	v_mov_b32_e32 v1, v0
	v_mov_b32_e32 v2, v0
	;; [unrolled: 1-line block ×7, first 2 shown]
	v_or_b32_e32 v24, 64, v18
	s_and_saveexec_b64 s[22:23], vcc
	s_cbranch_execz .LBB12_28
; %bb.1:
	v_lshrrev_b32_e32 v1, 6, v22
	v_lshlrev_b32_e32 v13, 2, v1
	v_or_b32_e32 v4, 3, v13
	v_mad_u64_u32 v[2:3], s[0:1], s18, v4, 0
	v_or_b32_e32 v8, 2, v13
	v_add_u32_e32 v6, s15, v23
	v_mad_u64_u32 v[3:4], s[0:1], s19, v4, v[3:4]
	v_mad_u64_u32 v[4:5], s[0:1], s18, v8, 0
	;; [unrolled: 1-line block ×4, first 2 shown]
	v_mov_b32_e32 v9, s18
	v_mov_b32_e32 v10, s19
	v_mad_u64_u32 v[9:10], s[0:1], s18, v13, v[9:10]
	v_mov_b32_e32 v5, v8
	v_ashrrev_i32_e32 v7, 31, v6
	v_mov_b32_e32 v8, v10
	v_mad_u64_u32 v[13:14], s[0:1], s19, v13, v[8:9]
	v_mov_b32_e32 v8, v12
	v_mad_u64_u32 v[14:15], s[0:1], s19, v1, v[8:9]
	v_mov_b32_e32 v10, v13
	v_mul_lo_u32 v13, s18, v7
	v_lshlrev_b64 v[2:3], 1, v[2:3]
	v_lshlrev_b64 v[7:8], 1, v[6:7]
	v_mov_b32_e32 v12, v14
	v_add_co_u32_e32 v17, vcc, v2, v7
	v_addc_co_u32_e32 v19, vcc, v3, v8, vcc
	v_lshlrev_b64 v[2:3], 1, v[4:5]
	v_mad_u64_u32 v[4:5], s[0:1], s18, v6, 0
	v_add_co_u32_e32 v20, vcc, v2, v7
	v_addc_co_u32_e32 v21, vcc, v3, v8, vcc
	v_lshlrev_b64 v[2:3], 1, v[9:10]
	v_mul_lo_u32 v9, s19, v6
	v_add_co_u32_e32 v25, vcc, v2, v7
	v_addc_co_u32_e32 v26, vcc, v3, v8, vcc
	v_lshlrev_b64 v[2:3], 3, v[11:12]
	v_add3_u32 v5, v5, v13, v9
	v_add_co_u32_e32 v27, vcc, v2, v7
	v_add_u32_e32 v2, 64, v6
	v_addc_co_u32_e32 v28, vcc, v3, v8, vcc
	v_ashrrev_i32_e32 v3, 31, v2
	v_add_u32_e32 v7, 0x80, v6
	v_add_u32_e32 v6, 0xc0, v6
	v_mul_lo_u32 v11, s18, v3
	v_mul_lo_u32 v12, s19, v2
	v_mad_u64_u32 v[2:3], s[0:1], s18, v2, 0
	v_ashrrev_i32_e32 v9, 31, v6
	v_ashrrev_i32_e32 v8, 31, v7
	v_mul_lo_u32 v15, s18, v9
	v_mul_lo_u32 v29, s19, v6
	v_mad_u64_u32 v[9:10], s[0:1], s18, v6, 0
	v_mul_lo_u32 v13, s18, v8
	v_mul_lo_u32 v14, s19, v7
	v_mad_u64_u32 v[7:8], s[0:1], s18, v7, 0
	v_or_b32_e32 v6, 0x80, v18
	v_cmp_gt_i32_e64 s[0:1], s13, v6
	v_or_b32_e32 v6, 0xc0, v18
	v_lshlrev_b64 v[4:5], 1, v[4:5]
	v_add3_u32 v3, v3, v11, v12
	v_cmp_gt_i32_e64 s[2:3], s13, v6
	v_lshlrev_b32_e32 v6, 3, v1
	v_add3_u32 v10, v10, v15, v29
	v_add_co_u32_e32 v29, vcc, v4, v6
	v_lshlrev_b64 v[1:2], 1, v[2:3]
	v_addc_co_u32_e32 v30, vcc, 0, v5, vcc
	v_add3_u32 v8, v8, v13, v14
	v_add_co_u32_e32 v31, vcc, v1, v6
	v_addc_co_u32_e32 v32, vcc, 0, v2, vcc
	v_lshlrev_b64 v[1:2], 1, v[7:8]
	s_cmp_lg_u32 s12, 1
	v_add_co_u32_e32 v33, vcc, v1, v6
	v_addc_co_u32_e32 v34, vcc, 0, v2, vcc
	v_lshlrev_b64 v[1:2], 1, v[9:10]
	s_cselect_b64 s[24:25], -1, 0
	v_add_co_u32_e32 v35, vcc, v1, v6
	v_addc_co_u32_e32 v36, vcc, 0, v2, vcc
	v_cmp_gt_i32_e64 s[4:5], s13, v18
	v_cmp_gt_i32_e64 s[6:7], s13, v24
	s_lshl_b64 s[26:27], s[18:19], 7
	v_mov_b32_e32 v1, v0
	v_mov_b32_e32 v2, v0
	;; [unrolled: 1-line block ×7, first 2 shown]
	s_mov_b64 s[28:29], 0
	s_movk_i32 s34, 0x7fff
	s_branch .LBB12_4
.LBB12_2:                               ;   in Loop: Header=BB12_4 Depth=1
	v_mov_b32_e32 v0, v8
	v_mov_b32_e32 v1, v9
	;; [unrolled: 1-line block ×8, first 2 shown]
.LBB12_3:                               ;   in Loop: Header=BB12_4 Depth=1
	s_or_b64 exec, exec, s[10:11]
	v_add_co_u32_e32 v29, vcc, 0x80, v29
	v_addc_co_u32_e32 v30, vcc, 0, v30, vcc
	v_mov_b32_e32 v8, s27
	v_add_co_u32_e32 v17, vcc, s26, v17
	v_addc_co_u32_e32 v19, vcc, v19, v8, vcc
	v_add_co_u32_e32 v31, vcc, 0x80, v31
	v_addc_co_u32_e32 v32, vcc, 0, v32, vcc
	;; [unrolled: 2-line block ×5, first 2 shown]
	v_add_co_u32_e32 v35, vcc, 0x80, v35
	v_add_u32_e32 v16, 64, v16
	v_addc_co_u32_e32 v36, vcc, 0, v36, vcc
	v_cmp_le_i32_e32 vcc, s33, v16
	s_or_b64 s[28:29], vcc, s[28:29]
	v_add_co_u32_e32 v27, vcc, s26, v27
	v_addc_co_u32_e32 v28, vcc, v28, v8, vcc
	s_andn2_b64 exec, exec, s[28:29]
	s_cbranch_execz .LBB12_27
.LBB12_4:                               ; =>This Inner Loop Header: Depth=1
	v_cndmask_b32_e64 v8, 0, 1, s[24:25]
	v_cmp_ne_u32_e64 s[8:9], 1, v8
	s_and_saveexec_b64 s[30:31], s[4:5]
	s_cbranch_execnz .LBB12_8
; %bb.5:                                ;   in Loop: Header=BB12_4 Depth=1
	s_or_b64 exec, exec, s[30:31]
	s_and_saveexec_b64 s[30:31], s[6:7]
	s_cbranch_execnz .LBB12_13
.LBB12_6:                               ;   in Loop: Header=BB12_4 Depth=1
	s_or_b64 exec, exec, s[30:31]
	s_and_saveexec_b64 s[30:31], s[0:1]
	s_cbranch_execnz .LBB12_18
.LBB12_7:                               ;   in Loop: Header=BB12_4 Depth=1
	s_or_b64 exec, exec, s[30:31]
	s_and_saveexec_b64 s[10:11], s[2:3]
	s_cbranch_execz .LBB12_3
	s_branch .LBB12_23
.LBB12_8:                               ;   in Loop: Header=BB12_4 Depth=1
	s_and_b64 vcc, exec, s[8:9]
	s_mov_b64 s[10:11], -1
                                        ; implicit-def: $vgpr8_vgpr9_vgpr10_vgpr11_vgpr12_vgpr13_vgpr14_vgpr15
	s_cbranch_vccnz .LBB12_10
; %bb.9:                                ;   in Loop: Header=BB12_4 Depth=1
	v_add_co_u32_e32 v8, vcc, s16, v29
	v_mov_b32_e32 v9, s17
	v_addc_co_u32_e32 v9, vcc, v9, v30, vcc
	global_load_dwordx2 v[8:9], v[8:9], off
	v_mov_b32_e32 v13, v5
	v_mov_b32_e32 v14, v6
	v_mov_b32_e32 v15, v7
	s_waitcnt vmcnt(0)
	v_and_b32_e32 v10, 0x7fff, v8
	v_cmp_eq_u16_e32 vcc, 0, v10
	v_add_co_u32_e64 v10, s[10:11], 1, v0
	v_addc_co_u32_e64 v11, s[10:11], 0, v1, s[10:11]
	v_cndmask_b32_e32 v10, v10, v0, vcc
	v_and_b32_sdwa v8, v8, s34 dst_sel:DWORD dst_unused:UNUSED_PAD src0_sel:WORD_1 src1_sel:DWORD
	v_cndmask_b32_e32 v11, v11, v1, vcc
	v_cmp_eq_u16_e32 vcc, 0, v8
	v_add_co_u32_e64 v8, s[10:11], 1, v10
	v_addc_co_u32_e64 v12, s[10:11], 0, v11, s[10:11]
	v_cndmask_b32_e32 v8, v8, v10, vcc
	v_and_b32_e32 v10, 0x7fff, v9
	v_cndmask_b32_e32 v11, v12, v11, vcc
	v_cmp_eq_u16_e32 vcc, 0, v10
	v_add_co_u32_e64 v10, s[10:11], 1, v8
	v_addc_co_u32_e64 v12, s[10:11], 0, v11, s[10:11]
	v_cndmask_b32_e32 v8, v10, v8, vcc
	v_cndmask_b32_e32 v11, v12, v11, vcc
	v_and_b32_sdwa v9, v9, s34 dst_sel:DWORD dst_unused:UNUSED_PAD src0_sel:WORD_1 src1_sel:DWORD
	v_add_co_u32_e64 v10, s[10:11], 1, v8
	v_cmp_eq_u16_e32 vcc, 0, v9
	v_addc_co_u32_e64 v9, s[10:11], 0, v11, s[10:11]
	v_cndmask_b32_e32 v9, v9, v11, vcc
	v_cndmask_b32_e32 v8, v10, v8, vcc
	v_mov_b32_e32 v10, v2
	v_mov_b32_e32 v11, v3
	;; [unrolled: 1-line block ×3, first 2 shown]
	s_mov_b64 s[10:11], 0
.LBB12_10:                              ;   in Loop: Header=BB12_4 Depth=1
	s_andn2_b64 vcc, exec, s[10:11]
	s_cbranch_vccnz .LBB12_12
; %bb.11:                               ;   in Loop: Header=BB12_4 Depth=1
	v_mov_b32_e32 v9, s17
	v_add_co_u32_e32 v8, vcc, s16, v27
	v_addc_co_u32_e32 v9, vcc, v9, v28, vcc
	v_mov_b32_e32 v11, s17
	v_add_co_u32_e32 v10, vcc, s16, v25
	v_addc_co_u32_e32 v11, vcc, v11, v26, vcc
	;; [unrolled: 3-line block ×4, first 2 shown]
	global_load_ushort v8, v[8:9], off
	s_nop 0
	global_load_ushort v9, v[10:11], off
	s_nop 0
	global_load_ushort v10, v[12:13], off
	global_load_ushort v11, v[14:15], off
	v_add_co_u32_e32 v12, vcc, 1, v0
	v_addc_co_u32_e32 v13, vcc, 0, v1, vcc
	s_waitcnt vmcnt(3)
	v_and_b32_e32 v8, 0x7fff, v8
	v_cmp_eq_u16_e32 vcc, 0, v8
	v_cndmask_b32_e32 v0, v12, v0, vcc
	v_cndmask_b32_e32 v1, v13, v1, vcc
	v_add_co_u32_e32 v8, vcc, 1, v0
	s_waitcnt vmcnt(2)
	v_and_b32_e32 v9, 0x7fff, v9
	v_addc_co_u32_e32 v12, vcc, 0, v1, vcc
	v_cmp_eq_u16_e32 vcc, 0, v9
	v_cndmask_b32_e32 v0, v8, v0, vcc
	v_cndmask_b32_e32 v1, v12, v1, vcc
	v_add_co_u32_e32 v8, vcc, 1, v0
	s_waitcnt vmcnt(1)
	v_and_b32_e32 v10, 0x7fff, v10
	v_addc_co_u32_e32 v9, vcc, 0, v1, vcc
	;; [unrolled: 7-line block ×3, first 2 shown]
	v_cmp_eq_u16_e32 vcc, 0, v11
	v_cndmask_b32_e32 v1, v9, v1, vcc
	v_cndmask_b32_e32 v0, v8, v0, vcc
	v_mov_b32_e32 v15, v7
	v_mov_b32_e32 v14, v6
	;; [unrolled: 1-line block ×8, first 2 shown]
.LBB12_12:                              ;   in Loop: Header=BB12_4 Depth=1
	v_mov_b32_e32 v0, v8
	v_mov_b32_e32 v1, v9
	;; [unrolled: 1-line block ×8, first 2 shown]
	s_or_b64 exec, exec, s[30:31]
	s_and_saveexec_b64 s[30:31], s[6:7]
	s_cbranch_execz .LBB12_6
.LBB12_13:                              ;   in Loop: Header=BB12_4 Depth=1
	s_and_b64 vcc, exec, s[8:9]
	s_mov_b64 s[10:11], -1
                                        ; implicit-def: $vgpr8_vgpr9_vgpr10_vgpr11_vgpr12_vgpr13_vgpr14_vgpr15
	s_cbranch_vccnz .LBB12_15
; %bb.14:                               ;   in Loop: Header=BB12_4 Depth=1
	v_add_co_u32_e32 v8, vcc, s16, v31
	v_mov_b32_e32 v9, s17
	v_addc_co_u32_e32 v9, vcc, v9, v32, vcc
	global_load_dwordx2 v[8:9], v[8:9], off
	v_mov_b32_e32 v13, v5
	v_mov_b32_e32 v14, v6
	;; [unrolled: 1-line block ×3, first 2 shown]
	s_waitcnt vmcnt(0)
	v_and_b32_e32 v10, 0x7fff, v8
	v_cmp_eq_u16_e32 vcc, 0, v10
	v_add_co_u32_e64 v10, s[10:11], 1, v2
	v_addc_co_u32_e64 v11, s[10:11], 0, v3, s[10:11]
	v_cndmask_b32_e32 v10, v10, v2, vcc
	v_and_b32_sdwa v8, v8, s34 dst_sel:DWORD dst_unused:UNUSED_PAD src0_sel:WORD_1 src1_sel:DWORD
	v_cndmask_b32_e32 v11, v11, v3, vcc
	v_cmp_eq_u16_e32 vcc, 0, v8
	v_add_co_u32_e64 v8, s[10:11], 1, v10
	v_addc_co_u32_e64 v12, s[10:11], 0, v11, s[10:11]
	v_cndmask_b32_e32 v8, v8, v10, vcc
	v_and_b32_e32 v10, 0x7fff, v9
	v_cndmask_b32_e32 v11, v12, v11, vcc
	v_cmp_eq_u16_e32 vcc, 0, v10
	v_add_co_u32_e64 v10, s[10:11], 1, v8
	v_addc_co_u32_e64 v12, s[10:11], 0, v11, s[10:11]
	v_cndmask_b32_e32 v8, v10, v8, vcc
	v_and_b32_sdwa v9, v9, s34 dst_sel:DWORD dst_unused:UNUSED_PAD src0_sel:WORD_1 src1_sel:DWORD
	v_cndmask_b32_e32 v11, v12, v11, vcc
	v_cmp_eq_u16_e32 vcc, 0, v9
	v_add_co_u32_e64 v9, s[10:11], 1, v8
	v_addc_co_u32_e64 v10, s[10:11], 0, v11, s[10:11]
	v_cndmask_b32_e32 v11, v10, v11, vcc
	v_cndmask_b32_e32 v10, v9, v8, vcc
	v_mov_b32_e32 v8, v0
	v_mov_b32_e32 v9, v1
	;; [unrolled: 1-line block ×3, first 2 shown]
	s_mov_b64 s[10:11], 0
.LBB12_15:                              ;   in Loop: Header=BB12_4 Depth=1
	s_andn2_b64 vcc, exec, s[10:11]
	s_cbranch_vccnz .LBB12_17
; %bb.16:                               ;   in Loop: Header=BB12_4 Depth=1
	v_mov_b32_e32 v9, s17
	v_add_co_u32_e32 v8, vcc, s16, v27
	v_addc_co_u32_e32 v9, vcc, v9, v28, vcc
	v_mov_b32_e32 v11, s17
	v_add_co_u32_e32 v10, vcc, s16, v25
	v_addc_co_u32_e32 v11, vcc, v11, v26, vcc
	;; [unrolled: 3-line block ×4, first 2 shown]
	global_load_ushort v8, v[8:9], off offset:128
	s_nop 0
	global_load_ushort v9, v[10:11], off offset:128
	s_nop 0
	global_load_ushort v10, v[12:13], off offset:128
	global_load_ushort v11, v[14:15], off offset:128
	v_add_co_u32_e32 v12, vcc, 1, v2
	v_addc_co_u32_e32 v13, vcc, 0, v3, vcc
	s_waitcnt vmcnt(3)
	v_and_b32_e32 v8, 0x7fff, v8
	v_cmp_eq_u16_e32 vcc, 0, v8
	v_cndmask_b32_e32 v2, v12, v2, vcc
	v_cndmask_b32_e32 v3, v13, v3, vcc
	v_add_co_u32_e32 v8, vcc, 1, v2
	s_waitcnt vmcnt(2)
	v_and_b32_e32 v9, 0x7fff, v9
	v_addc_co_u32_e32 v12, vcc, 0, v3, vcc
	v_cmp_eq_u16_e32 vcc, 0, v9
	v_cndmask_b32_e32 v2, v8, v2, vcc
	v_cndmask_b32_e32 v3, v12, v3, vcc
	v_add_co_u32_e32 v8, vcc, 1, v2
	s_waitcnt vmcnt(1)
	v_and_b32_e32 v10, 0x7fff, v10
	v_addc_co_u32_e32 v9, vcc, 0, v3, vcc
	;; [unrolled: 7-line block ×3, first 2 shown]
	v_cmp_eq_u16_e32 vcc, 0, v11
	v_cndmask_b32_e32 v3, v9, v3, vcc
	v_cndmask_b32_e32 v2, v8, v2, vcc
	v_mov_b32_e32 v15, v7
	v_mov_b32_e32 v14, v6
	;; [unrolled: 1-line block ×8, first 2 shown]
.LBB12_17:                              ;   in Loop: Header=BB12_4 Depth=1
	v_mov_b32_e32 v0, v8
	v_mov_b32_e32 v1, v9
	;; [unrolled: 1-line block ×8, first 2 shown]
	s_or_b64 exec, exec, s[30:31]
	s_and_saveexec_b64 s[30:31], s[0:1]
	s_cbranch_execz .LBB12_7
.LBB12_18:                              ;   in Loop: Header=BB12_4 Depth=1
	s_and_b64 vcc, exec, s[8:9]
	s_mov_b64 s[10:11], -1
                                        ; implicit-def: $vgpr8_vgpr9_vgpr10_vgpr11_vgpr12_vgpr13_vgpr14_vgpr15
	s_cbranch_vccnz .LBB12_20
; %bb.19:                               ;   in Loop: Header=BB12_4 Depth=1
	v_add_co_u32_e32 v8, vcc, s16, v33
	v_mov_b32_e32 v9, s17
	v_addc_co_u32_e32 v9, vcc, v9, v34, vcc
	global_load_dwordx2 v[8:9], v[8:9], off
	v_mov_b32_e32 v14, v6
	v_mov_b32_e32 v15, v7
	s_waitcnt vmcnt(0)
	v_and_b32_e32 v10, 0x7fff, v8
	v_cmp_eq_u16_e32 vcc, 0, v10
	v_add_co_u32_e64 v10, s[10:11], 1, v4
	v_addc_co_u32_e64 v11, s[10:11], 0, v5, s[10:11]
	v_cndmask_b32_e32 v10, v10, v4, vcc
	v_and_b32_sdwa v8, v8, s34 dst_sel:DWORD dst_unused:UNUSED_PAD src0_sel:WORD_1 src1_sel:DWORD
	v_cndmask_b32_e32 v11, v11, v5, vcc
	v_cmp_eq_u16_e32 vcc, 0, v8
	v_add_co_u32_e64 v8, s[10:11], 1, v10
	v_addc_co_u32_e64 v12, s[10:11], 0, v11, s[10:11]
	v_cndmask_b32_e32 v8, v8, v10, vcc
	v_and_b32_e32 v10, 0x7fff, v9
	v_cndmask_b32_e32 v11, v12, v11, vcc
	v_cmp_eq_u16_e32 vcc, 0, v10
	v_add_co_u32_e64 v10, s[10:11], 1, v8
	v_addc_co_u32_e64 v12, s[10:11], 0, v11, s[10:11]
	v_cndmask_b32_e32 v8, v10, v8, vcc
	v_and_b32_sdwa v9, v9, s34 dst_sel:DWORD dst_unused:UNUSED_PAD src0_sel:WORD_1 src1_sel:DWORD
	v_cndmask_b32_e32 v11, v12, v11, vcc
	v_cmp_eq_u16_e32 vcc, 0, v9
	v_add_co_u32_e64 v9, s[10:11], 1, v8
	v_addc_co_u32_e64 v10, s[10:11], 0, v11, s[10:11]
	v_cndmask_b32_e32 v13, v10, v11, vcc
	v_cndmask_b32_e32 v12, v9, v8, vcc
	v_mov_b32_e32 v8, v0
	v_mov_b32_e32 v9, v1
	;; [unrolled: 1-line block ×4, first 2 shown]
	s_mov_b64 s[10:11], 0
.LBB12_20:                              ;   in Loop: Header=BB12_4 Depth=1
	s_andn2_b64 vcc, exec, s[10:11]
	s_cbranch_vccnz .LBB12_22
; %bb.21:                               ;   in Loop: Header=BB12_4 Depth=1
	v_mov_b32_e32 v9, s17
	v_add_co_u32_e32 v8, vcc, s16, v27
	v_addc_co_u32_e32 v9, vcc, v9, v28, vcc
	v_mov_b32_e32 v11, s17
	v_add_co_u32_e32 v10, vcc, s16, v25
	v_addc_co_u32_e32 v11, vcc, v11, v26, vcc
	;; [unrolled: 3-line block ×4, first 2 shown]
	global_load_ushort v8, v[8:9], off offset:256
	s_nop 0
	global_load_ushort v9, v[10:11], off offset:256
	s_nop 0
	global_load_ushort v10, v[12:13], off offset:256
	global_load_ushort v11, v[14:15], off offset:256
	v_add_co_u32_e32 v12, vcc, 1, v4
	v_addc_co_u32_e32 v13, vcc, 0, v5, vcc
	s_waitcnt vmcnt(3)
	v_and_b32_e32 v8, 0x7fff, v8
	v_cmp_eq_u16_e32 vcc, 0, v8
	v_cndmask_b32_e32 v4, v12, v4, vcc
	v_cndmask_b32_e32 v5, v13, v5, vcc
	v_add_co_u32_e32 v8, vcc, 1, v4
	s_waitcnt vmcnt(2)
	v_and_b32_e32 v9, 0x7fff, v9
	v_addc_co_u32_e32 v12, vcc, 0, v5, vcc
	v_cmp_eq_u16_e32 vcc, 0, v9
	v_cndmask_b32_e32 v4, v8, v4, vcc
	v_cndmask_b32_e32 v5, v12, v5, vcc
	v_add_co_u32_e32 v8, vcc, 1, v4
	s_waitcnt vmcnt(1)
	v_and_b32_e32 v10, 0x7fff, v10
	v_addc_co_u32_e32 v9, vcc, 0, v5, vcc
	;; [unrolled: 7-line block ×3, first 2 shown]
	v_cmp_eq_u16_e32 vcc, 0, v11
	v_cndmask_b32_e32 v5, v9, v5, vcc
	v_cndmask_b32_e32 v4, v8, v4, vcc
	v_mov_b32_e32 v15, v7
	v_mov_b32_e32 v14, v6
	;; [unrolled: 1-line block ×8, first 2 shown]
.LBB12_22:                              ;   in Loop: Header=BB12_4 Depth=1
	v_mov_b32_e32 v0, v8
	v_mov_b32_e32 v1, v9
	;; [unrolled: 1-line block ×8, first 2 shown]
	s_or_b64 exec, exec, s[30:31]
	s_and_saveexec_b64 s[10:11], s[2:3]
	s_cbranch_execz .LBB12_3
.LBB12_23:                              ;   in Loop: Header=BB12_4 Depth=1
	s_and_b64 vcc, exec, s[8:9]
	s_mov_b64 s[8:9], -1
                                        ; implicit-def: $vgpr8_vgpr9_vgpr10_vgpr11_vgpr12_vgpr13_vgpr14_vgpr15
	s_cbranch_vccnz .LBB12_25
; %bb.24:                               ;   in Loop: Header=BB12_4 Depth=1
	v_add_co_u32_e32 v8, vcc, s16, v35
	v_mov_b32_e32 v9, s17
	v_addc_co_u32_e32 v9, vcc, v9, v36, vcc
	global_load_dwordx2 v[8:9], v[8:9], off
	v_mov_b32_e32 v13, v5
	s_waitcnt vmcnt(0)
	v_and_b32_e32 v10, 0x7fff, v8
	v_cmp_eq_u16_e32 vcc, 0, v10
	v_add_co_u32_e64 v10, s[8:9], 1, v6
	v_addc_co_u32_e64 v11, s[8:9], 0, v7, s[8:9]
	v_cndmask_b32_e32 v10, v10, v6, vcc
	v_and_b32_sdwa v8, v8, s34 dst_sel:DWORD dst_unused:UNUSED_PAD src0_sel:WORD_1 src1_sel:DWORD
	v_cndmask_b32_e32 v11, v11, v7, vcc
	v_cmp_eq_u16_e32 vcc, 0, v8
	v_add_co_u32_e64 v8, s[8:9], 1, v10
	v_addc_co_u32_e64 v12, s[8:9], 0, v11, s[8:9]
	v_cndmask_b32_e32 v8, v8, v10, vcc
	v_and_b32_e32 v10, 0x7fff, v9
	v_cndmask_b32_e32 v11, v12, v11, vcc
	v_cmp_eq_u16_e32 vcc, 0, v10
	v_add_co_u32_e64 v10, s[8:9], 1, v8
	v_addc_co_u32_e64 v12, s[8:9], 0, v11, s[8:9]
	v_cndmask_b32_e32 v8, v10, v8, vcc
	v_and_b32_sdwa v9, v9, s34 dst_sel:DWORD dst_unused:UNUSED_PAD src0_sel:WORD_1 src1_sel:DWORD
	v_cndmask_b32_e32 v11, v12, v11, vcc
	v_cmp_eq_u16_e32 vcc, 0, v9
	v_add_co_u32_e64 v9, s[8:9], 1, v8
	v_addc_co_u32_e64 v10, s[8:9], 0, v11, s[8:9]
	v_cndmask_b32_e32 v15, v10, v11, vcc
	v_cndmask_b32_e32 v14, v9, v8, vcc
	v_mov_b32_e32 v8, v0
	v_mov_b32_e32 v9, v1
	;; [unrolled: 1-line block ×5, first 2 shown]
	s_mov_b64 s[8:9], 0
.LBB12_25:                              ;   in Loop: Header=BB12_4 Depth=1
	s_andn2_b64 vcc, exec, s[8:9]
	s_cbranch_vccnz .LBB12_2
; %bb.26:                               ;   in Loop: Header=BB12_4 Depth=1
	v_mov_b32_e32 v9, s17
	v_add_co_u32_e32 v8, vcc, s16, v27
	v_addc_co_u32_e32 v9, vcc, v9, v28, vcc
	v_mov_b32_e32 v11, s17
	v_add_co_u32_e32 v10, vcc, s16, v25
	v_addc_co_u32_e32 v11, vcc, v11, v26, vcc
	;; [unrolled: 3-line block ×4, first 2 shown]
	global_load_ushort v8, v[8:9], off offset:384
	s_nop 0
	global_load_ushort v9, v[10:11], off offset:384
	s_nop 0
	global_load_ushort v10, v[12:13], off offset:384
	global_load_ushort v11, v[14:15], off offset:384
	v_add_co_u32_e32 v12, vcc, 1, v6
	v_addc_co_u32_e32 v13, vcc, 0, v7, vcc
	s_waitcnt vmcnt(3)
	v_and_b32_e32 v8, 0x7fff, v8
	v_cmp_eq_u16_e32 vcc, 0, v8
	v_cndmask_b32_e32 v6, v12, v6, vcc
	v_cndmask_b32_e32 v7, v13, v7, vcc
	v_add_co_u32_e32 v8, vcc, 1, v6
	s_waitcnt vmcnt(2)
	v_and_b32_e32 v9, 0x7fff, v9
	v_addc_co_u32_e32 v12, vcc, 0, v7, vcc
	v_cmp_eq_u16_e32 vcc, 0, v9
	v_cndmask_b32_e32 v6, v8, v6, vcc
	v_cndmask_b32_e32 v7, v12, v7, vcc
	v_add_co_u32_e32 v8, vcc, 1, v6
	s_waitcnt vmcnt(1)
	v_and_b32_e32 v10, 0x7fff, v10
	v_addc_co_u32_e32 v9, vcc, 0, v7, vcc
	;; [unrolled: 7-line block ×3, first 2 shown]
	v_cmp_eq_u16_e32 vcc, 0, v11
	v_cndmask_b32_e32 v7, v9, v7, vcc
	v_cndmask_b32_e32 v6, v8, v6, vcc
	v_mov_b32_e32 v15, v7
	v_mov_b32_e32 v14, v6
	;; [unrolled: 1-line block ×8, first 2 shown]
	s_branch .LBB12_2
.LBB12_27:
	s_or_b64 exec, exec, s[28:29]
.LBB12_28:
	s_or_b64 exec, exec, s[22:23]
	s_sub_i32 s0, s14, s33
	s_cmp_lt_i32 s0, 1
	s_cbranch_scc1 .LBB12_134
; %bb.29:
	v_mov_b32_e32 v17, 0
	v_lshlrev_b64 v[8:9], 1, v[16:17]
	v_mov_b32_e32 v10, s17
	v_add_co_u32_e32 v17, vcc, s16, v8
	s_cmp_lg_u32 s12, 1
	v_addc_co_u32_e32 v25, vcc, v10, v9, vcc
	s_cselect_b64 s[0:1], -1, 0
	v_cmp_gt_i32_e32 vcc, s13, v18
	v_ashrrev_i32_e32 v19, 31, v18
	s_and_saveexec_b64 s[2:3], vcc
	s_cbranch_execz .LBB12_55
; %bb.30:
	v_mul_lo_u32 v10, s19, v18
	v_mul_lo_u32 v11, s18, v19
	v_mad_u64_u32 v[8:9], s[4:5], s18, v18, 0
	v_add3_u32 v9, v9, v11, v10
	v_lshlrev_b64 v[8:9], 1, v[8:9]
	v_mov_b32_e32 v10, s17
	v_add_co_u32_e32 v20, vcc, v17, v8
	v_addc_co_u32_e32 v21, vcc, v25, v9, vcc
	v_lshlrev_b64 v[8:9], 1, v[18:19]
	v_add_co_u32_e32 v26, vcc, s16, v8
	v_addc_co_u32_e32 v27, vcc, v10, v9, vcc
	v_cmp_gt_i32_e32 vcc, s14, v16
	s_and_saveexec_b64 s[4:5], vcc
	s_cbranch_execz .LBB12_36
; %bb.31:
	s_and_b64 vcc, exec, s[0:1]
	s_cbranch_vccz .LBB12_33
; %bb.32:
	global_load_ushort v28, v[20:21], off
	v_mov_b32_e32 v15, v7
	v_mov_b32_e32 v8, v0
	;; [unrolled: 1-line block ×8, first 2 shown]
	s_waitcnt vmcnt(0)
	v_and_b32_e32 v8, 0x7fff, v28
	v_cmp_ne_u16_e32 vcc, 0, v8
	v_cndmask_b32_e64 v8, 0, 1, vcc
	v_add_co_u32_e32 v8, vcc, v0, v8
	v_addc_co_u32_e32 v9, vcc, 0, v1, vcc
	s_cbranch_execz .LBB12_34
	s_branch .LBB12_35
.LBB12_33:
                                        ; implicit-def: $vgpr8_vgpr9_vgpr10_vgpr11_vgpr12_vgpr13_vgpr14_vgpr15
.LBB12_34:
	v_mad_u64_u32 v[8:9], s[6:7], s18, v16, 0
	v_mad_u64_u32 v[9:10], s[6:7], s19, v16, v[9:10]
	v_lshlrev_b64 v[8:9], 1, v[8:9]
	v_add_co_u32_e32 v8, vcc, v26, v8
	v_addc_co_u32_e32 v9, vcc, v27, v9, vcc
	global_load_ushort v8, v[8:9], off
	s_waitcnt vmcnt(0)
	v_and_b32_e32 v8, 0x7fff, v8
	v_cmp_ne_u16_e32 vcc, 0, v8
	v_cndmask_b32_e64 v8, 0, 1, vcc
	v_add_co_u32_e32 v0, vcc, v0, v8
	v_addc_co_u32_e32 v1, vcc, 0, v1, vcc
	v_mov_b32_e32 v15, v7
	v_mov_b32_e32 v14, v6
	;; [unrolled: 1-line block ×8, first 2 shown]
.LBB12_35:
	v_mov_b32_e32 v0, v8
	v_mov_b32_e32 v1, v9
	;; [unrolled: 1-line block ×8, first 2 shown]
.LBB12_36:
	s_or_b64 exec, exec, s[4:5]
	v_or_b32_e32 v28, 1, v16
	v_cmp_gt_i32_e32 vcc, s14, v28
	s_and_saveexec_b64 s[4:5], vcc
	s_cbranch_execz .LBB12_42
; %bb.37:
	s_andn2_b64 vcc, exec, s[0:1]
	s_cbranch_vccnz .LBB12_39
; %bb.38:
	global_load_ushort v29, v[20:21], off offset:2
	v_mov_b32_e32 v15, v7
	v_mov_b32_e32 v8, v0
	v_mov_b32_e32 v9, v1
	v_mov_b32_e32 v14, v6
	v_mov_b32_e32 v13, v5
	v_mov_b32_e32 v12, v4
	v_mov_b32_e32 v11, v3
	v_mov_b32_e32 v10, v2
	s_waitcnt vmcnt(0)
	v_and_b32_e32 v8, 0x7fff, v29
	v_cmp_ne_u16_e32 vcc, 0, v8
	v_cndmask_b32_e64 v8, 0, 1, vcc
	v_add_co_u32_e32 v8, vcc, v0, v8
	v_addc_co_u32_e32 v9, vcc, 0, v1, vcc
	s_cbranch_execz .LBB12_40
	s_branch .LBB12_41
.LBB12_39:
                                        ; implicit-def: $vgpr8_vgpr9_vgpr10_vgpr11_vgpr12_vgpr13_vgpr14_vgpr15
.LBB12_40:
	v_mad_u64_u32 v[8:9], s[6:7], s18, v28, 0
	v_mad_u64_u32 v[9:10], s[6:7], s19, v28, v[9:10]
	v_lshlrev_b64 v[8:9], 1, v[8:9]
	v_add_co_u32_e32 v8, vcc, v26, v8
	v_addc_co_u32_e32 v9, vcc, v27, v9, vcc
	global_load_ushort v8, v[8:9], off
	s_waitcnt vmcnt(0)
	v_and_b32_e32 v8, 0x7fff, v8
	v_cmp_ne_u16_e32 vcc, 0, v8
	v_cndmask_b32_e64 v8, 0, 1, vcc
	v_add_co_u32_e32 v0, vcc, v0, v8
	v_addc_co_u32_e32 v1, vcc, 0, v1, vcc
	v_mov_b32_e32 v15, v7
	v_mov_b32_e32 v14, v6
	v_mov_b32_e32 v13, v5
	v_mov_b32_e32 v12, v4
	v_mov_b32_e32 v11, v3
	v_mov_b32_e32 v10, v2
	v_mov_b32_e32 v9, v1
	v_mov_b32_e32 v8, v0
.LBB12_41:
	v_mov_b32_e32 v0, v8
	v_mov_b32_e32 v1, v9
	v_mov_b32_e32 v2, v10
	v_mov_b32_e32 v3, v11
	v_mov_b32_e32 v4, v12
	v_mov_b32_e32 v5, v13
	v_mov_b32_e32 v6, v14
	v_mov_b32_e32 v7, v15
.LBB12_42:
	s_or_b64 exec, exec, s[4:5]
	v_or_b32_e32 v28, 2, v16
	v_cmp_gt_i32_e32 vcc, s14, v28
	s_and_saveexec_b64 s[4:5], vcc
	s_cbranch_execz .LBB12_48
; %bb.43:
	s_andn2_b64 vcc, exec, s[0:1]
	s_cbranch_vccnz .LBB12_45
; %bb.44:
	global_load_ushort v29, v[20:21], off offset:4
	v_mov_b32_e32 v15, v7
	v_mov_b32_e32 v8, v0
	v_mov_b32_e32 v9, v1
	v_mov_b32_e32 v14, v6
	v_mov_b32_e32 v13, v5
	v_mov_b32_e32 v12, v4
	v_mov_b32_e32 v11, v3
	v_mov_b32_e32 v10, v2
	s_waitcnt vmcnt(0)
	v_and_b32_e32 v8, 0x7fff, v29
	v_cmp_ne_u16_e32 vcc, 0, v8
	v_cndmask_b32_e64 v8, 0, 1, vcc
	v_add_co_u32_e32 v8, vcc, v0, v8
	v_addc_co_u32_e32 v9, vcc, 0, v1, vcc
	s_cbranch_execz .LBB12_46
	s_branch .LBB12_47
.LBB12_45:
                                        ; implicit-def: $vgpr8_vgpr9_vgpr10_vgpr11_vgpr12_vgpr13_vgpr14_vgpr15
.LBB12_46:
	v_mad_u64_u32 v[8:9], s[6:7], s18, v28, 0
	v_mad_u64_u32 v[9:10], s[6:7], s19, v28, v[9:10]
	v_lshlrev_b64 v[8:9], 1, v[8:9]
	v_add_co_u32_e32 v8, vcc, v26, v8
	v_addc_co_u32_e32 v9, vcc, v27, v9, vcc
	global_load_ushort v8, v[8:9], off
	s_waitcnt vmcnt(0)
	v_and_b32_e32 v8, 0x7fff, v8
	v_cmp_ne_u16_e32 vcc, 0, v8
	v_cndmask_b32_e64 v8, 0, 1, vcc
	v_add_co_u32_e32 v0, vcc, v0, v8
	v_addc_co_u32_e32 v1, vcc, 0, v1, vcc
	v_mov_b32_e32 v15, v7
	v_mov_b32_e32 v14, v6
	v_mov_b32_e32 v13, v5
	v_mov_b32_e32 v12, v4
	v_mov_b32_e32 v11, v3
	v_mov_b32_e32 v10, v2
	v_mov_b32_e32 v9, v1
	v_mov_b32_e32 v8, v0
.LBB12_47:
	v_mov_b32_e32 v0, v8
	v_mov_b32_e32 v1, v9
	v_mov_b32_e32 v2, v10
	v_mov_b32_e32 v3, v11
	v_mov_b32_e32 v4, v12
	v_mov_b32_e32 v5, v13
	v_mov_b32_e32 v6, v14
	v_mov_b32_e32 v7, v15
.LBB12_48:
	;; [unrolled: 59-line block ×3, first 2 shown]
	s_or_b64 exec, exec, s[4:5]
.LBB12_55:
	s_or_b64 exec, exec, s[2:3]
	v_cmp_gt_i32_e32 vcc, s13, v24
	s_and_saveexec_b64 s[2:3], vcc
	s_cbranch_execz .LBB12_81
; %bb.56:
	v_ashrrev_i32_e32 v10, 31, v24
	v_mul_lo_u32 v11, s19, v24
	v_mad_u64_u32 v[8:9], s[4:5], s18, v24, 0
	v_mul_lo_u32 v10, s18, v10
	v_add3_u32 v9, v9, v10, v11
	v_lshlrev_b64 v[8:9], 1, v[8:9]
	v_mov_b32_e32 v10, s17
	v_add_co_u32_e32 v20, vcc, v17, v8
	v_addc_co_u32_e32 v21, vcc, v25, v9, vcc
	v_lshlrev_b64 v[8:9], 1, v[18:19]
	v_add_co_u32_e32 v24, vcc, s16, v8
	v_addc_co_u32_e32 v26, vcc, v10, v9, vcc
	v_cmp_gt_i32_e32 vcc, s14, v16
	s_and_saveexec_b64 s[4:5], vcc
	s_cbranch_execz .LBB12_62
; %bb.57:
	s_andn2_b64 vcc, exec, s[0:1]
	s_cbranch_vccnz .LBB12_59
; %bb.58:
	global_load_ushort v27, v[20:21], off
	v_mov_b32_e32 v15, v7
	v_mov_b32_e32 v10, v2
	;; [unrolled: 1-line block ×8, first 2 shown]
	s_waitcnt vmcnt(0)
	v_and_b32_e32 v10, 0x7fff, v27
	v_cmp_ne_u16_e32 vcc, 0, v10
	v_cndmask_b32_e64 v10, 0, 1, vcc
	v_add_co_u32_e32 v10, vcc, v2, v10
	v_addc_co_u32_e32 v11, vcc, 0, v3, vcc
	s_cbranch_execz .LBB12_60
	s_branch .LBB12_61
.LBB12_59:
                                        ; implicit-def: $vgpr8_vgpr9_vgpr10_vgpr11_vgpr12_vgpr13_vgpr14_vgpr15
.LBB12_60:
	v_mad_u64_u32 v[8:9], s[6:7], s18, v16, 0
	v_mad_u64_u32 v[9:10], s[6:7], s19, v16, v[9:10]
	v_lshlrev_b64 v[8:9], 1, v[8:9]
	v_add_co_u32_e32 v8, vcc, v24, v8
	v_addc_co_u32_e32 v9, vcc, v26, v9, vcc
	global_load_ushort v8, v[8:9], off offset:128
	s_waitcnt vmcnt(0)
	v_and_b32_e32 v8, 0x7fff, v8
	v_cmp_ne_u16_e32 vcc, 0, v8
	v_cndmask_b32_e64 v8, 0, 1, vcc
	v_add_co_u32_e32 v2, vcc, v2, v8
	v_addc_co_u32_e32 v3, vcc, 0, v3, vcc
	v_mov_b32_e32 v15, v7
	v_mov_b32_e32 v14, v6
	;; [unrolled: 1-line block ×8, first 2 shown]
.LBB12_61:
	v_mov_b32_e32 v0, v8
	v_mov_b32_e32 v1, v9
	;; [unrolled: 1-line block ×8, first 2 shown]
.LBB12_62:
	s_or_b64 exec, exec, s[4:5]
	v_or_b32_e32 v27, 1, v16
	v_cmp_gt_i32_e32 vcc, s14, v27
	s_and_saveexec_b64 s[4:5], vcc
	s_cbranch_execz .LBB12_68
; %bb.63:
	s_andn2_b64 vcc, exec, s[0:1]
	s_cbranch_vccnz .LBB12_65
; %bb.64:
	global_load_ushort v28, v[20:21], off offset:2
	v_mov_b32_e32 v15, v7
	v_mov_b32_e32 v10, v2
	v_mov_b32_e32 v11, v3
	v_mov_b32_e32 v14, v6
	v_mov_b32_e32 v13, v5
	v_mov_b32_e32 v12, v4
	v_mov_b32_e32 v9, v1
	v_mov_b32_e32 v8, v0
	s_waitcnt vmcnt(0)
	v_and_b32_e32 v10, 0x7fff, v28
	v_cmp_ne_u16_e32 vcc, 0, v10
	v_cndmask_b32_e64 v10, 0, 1, vcc
	v_add_co_u32_e32 v10, vcc, v2, v10
	v_addc_co_u32_e32 v11, vcc, 0, v3, vcc
	s_cbranch_execz .LBB12_66
	s_branch .LBB12_67
.LBB12_65:
                                        ; implicit-def: $vgpr8_vgpr9_vgpr10_vgpr11_vgpr12_vgpr13_vgpr14_vgpr15
.LBB12_66:
	v_mad_u64_u32 v[8:9], s[6:7], s18, v27, 0
	v_mad_u64_u32 v[9:10], s[6:7], s19, v27, v[9:10]
	v_lshlrev_b64 v[8:9], 1, v[8:9]
	v_add_co_u32_e32 v8, vcc, v24, v8
	v_addc_co_u32_e32 v9, vcc, v26, v9, vcc
	global_load_ushort v8, v[8:9], off offset:128
	s_waitcnt vmcnt(0)
	v_and_b32_e32 v8, 0x7fff, v8
	v_cmp_ne_u16_e32 vcc, 0, v8
	v_cndmask_b32_e64 v8, 0, 1, vcc
	v_add_co_u32_e32 v2, vcc, v2, v8
	v_addc_co_u32_e32 v3, vcc, 0, v3, vcc
	v_mov_b32_e32 v15, v7
	v_mov_b32_e32 v14, v6
	v_mov_b32_e32 v13, v5
	v_mov_b32_e32 v12, v4
	v_mov_b32_e32 v11, v3
	v_mov_b32_e32 v10, v2
	v_mov_b32_e32 v9, v1
	v_mov_b32_e32 v8, v0
.LBB12_67:
	v_mov_b32_e32 v0, v8
	v_mov_b32_e32 v1, v9
	v_mov_b32_e32 v2, v10
	v_mov_b32_e32 v3, v11
	v_mov_b32_e32 v4, v12
	v_mov_b32_e32 v5, v13
	v_mov_b32_e32 v6, v14
	v_mov_b32_e32 v7, v15
.LBB12_68:
	s_or_b64 exec, exec, s[4:5]
	v_or_b32_e32 v27, 2, v16
	v_cmp_gt_i32_e32 vcc, s14, v27
	s_and_saveexec_b64 s[4:5], vcc
	s_cbranch_execz .LBB12_74
; %bb.69:
	s_andn2_b64 vcc, exec, s[0:1]
	s_cbranch_vccnz .LBB12_71
; %bb.70:
	global_load_ushort v28, v[20:21], off offset:4
	v_mov_b32_e32 v15, v7
	v_mov_b32_e32 v10, v2
	v_mov_b32_e32 v11, v3
	v_mov_b32_e32 v14, v6
	v_mov_b32_e32 v13, v5
	v_mov_b32_e32 v12, v4
	v_mov_b32_e32 v9, v1
	v_mov_b32_e32 v8, v0
	s_waitcnt vmcnt(0)
	v_and_b32_e32 v10, 0x7fff, v28
	v_cmp_ne_u16_e32 vcc, 0, v10
	v_cndmask_b32_e64 v10, 0, 1, vcc
	v_add_co_u32_e32 v10, vcc, v2, v10
	v_addc_co_u32_e32 v11, vcc, 0, v3, vcc
	s_cbranch_execz .LBB12_72
	s_branch .LBB12_73
.LBB12_71:
                                        ; implicit-def: $vgpr8_vgpr9_vgpr10_vgpr11_vgpr12_vgpr13_vgpr14_vgpr15
.LBB12_72:
	v_mad_u64_u32 v[8:9], s[6:7], s18, v27, 0
	v_mad_u64_u32 v[9:10], s[6:7], s19, v27, v[9:10]
	v_lshlrev_b64 v[8:9], 1, v[8:9]
	v_add_co_u32_e32 v8, vcc, v24, v8
	v_addc_co_u32_e32 v9, vcc, v26, v9, vcc
	global_load_ushort v8, v[8:9], off offset:128
	s_waitcnt vmcnt(0)
	v_and_b32_e32 v8, 0x7fff, v8
	v_cmp_ne_u16_e32 vcc, 0, v8
	v_cndmask_b32_e64 v8, 0, 1, vcc
	v_add_co_u32_e32 v2, vcc, v2, v8
	v_addc_co_u32_e32 v3, vcc, 0, v3, vcc
	v_mov_b32_e32 v15, v7
	v_mov_b32_e32 v14, v6
	v_mov_b32_e32 v13, v5
	v_mov_b32_e32 v12, v4
	v_mov_b32_e32 v11, v3
	v_mov_b32_e32 v10, v2
	v_mov_b32_e32 v9, v1
	v_mov_b32_e32 v8, v0
.LBB12_73:
	v_mov_b32_e32 v0, v8
	v_mov_b32_e32 v1, v9
	v_mov_b32_e32 v2, v10
	v_mov_b32_e32 v3, v11
	v_mov_b32_e32 v4, v12
	v_mov_b32_e32 v5, v13
	v_mov_b32_e32 v6, v14
	v_mov_b32_e32 v7, v15
.LBB12_74:
	;; [unrolled: 59-line block ×3, first 2 shown]
	s_or_b64 exec, exec, s[4:5]
.LBB12_81:
	s_or_b64 exec, exec, s[2:3]
	v_or_b32_e32 v8, 0x80, v18
	v_cmp_gt_i32_e32 vcc, s13, v8
	s_and_saveexec_b64 s[2:3], vcc
	s_cbranch_execz .LBB12_107
; %bb.82:
	v_ashrrev_i32_e32 v10, 31, v8
	v_mul_lo_u32 v11, s19, v8
	v_mad_u64_u32 v[8:9], s[4:5], s18, v8, 0
	v_mul_lo_u32 v10, s18, v10
	v_add3_u32 v9, v9, v10, v11
	v_lshlrev_b64 v[8:9], 1, v[8:9]
	v_mov_b32_e32 v10, s17
	v_add_co_u32_e32 v20, vcc, v17, v8
	v_addc_co_u32_e32 v21, vcc, v25, v9, vcc
	v_lshlrev_b64 v[8:9], 1, v[18:19]
	v_add_co_u32_e32 v24, vcc, s16, v8
	v_addc_co_u32_e32 v26, vcc, v10, v9, vcc
	v_cmp_gt_i32_e32 vcc, s14, v16
	s_and_saveexec_b64 s[4:5], vcc
	s_cbranch_execz .LBB12_88
; %bb.83:
	s_andn2_b64 vcc, exec, s[0:1]
	s_cbranch_vccnz .LBB12_85
; %bb.84:
	global_load_ushort v27, v[20:21], off
	v_mov_b32_e32 v15, v7
	v_mov_b32_e32 v12, v4
	;; [unrolled: 1-line block ×8, first 2 shown]
	s_waitcnt vmcnt(0)
	v_and_b32_e32 v12, 0x7fff, v27
	v_cmp_ne_u16_e32 vcc, 0, v12
	v_cndmask_b32_e64 v12, 0, 1, vcc
	v_add_co_u32_e32 v12, vcc, v4, v12
	v_addc_co_u32_e32 v13, vcc, 0, v5, vcc
	s_cbranch_execz .LBB12_86
	s_branch .LBB12_87
.LBB12_85:
                                        ; implicit-def: $vgpr8_vgpr9_vgpr10_vgpr11_vgpr12_vgpr13_vgpr14_vgpr15
.LBB12_86:
	v_mad_u64_u32 v[8:9], s[6:7], s18, v16, 0
	v_mad_u64_u32 v[9:10], s[6:7], s19, v16, v[9:10]
	v_lshlrev_b64 v[8:9], 1, v[8:9]
	v_add_co_u32_e32 v8, vcc, v24, v8
	v_addc_co_u32_e32 v9, vcc, v26, v9, vcc
	global_load_ushort v8, v[8:9], off offset:256
	s_waitcnt vmcnt(0)
	v_and_b32_e32 v8, 0x7fff, v8
	v_cmp_ne_u16_e32 vcc, 0, v8
	v_cndmask_b32_e64 v8, 0, 1, vcc
	v_add_co_u32_e32 v4, vcc, v4, v8
	v_addc_co_u32_e32 v5, vcc, 0, v5, vcc
	v_mov_b32_e32 v15, v7
	v_mov_b32_e32 v14, v6
	v_mov_b32_e32 v13, v5
	v_mov_b32_e32 v12, v4
	v_mov_b32_e32 v11, v3
	v_mov_b32_e32 v10, v2
	v_mov_b32_e32 v9, v1
	v_mov_b32_e32 v8, v0
.LBB12_87:
	v_mov_b32_e32 v0, v8
	v_mov_b32_e32 v1, v9
	;; [unrolled: 1-line block ×8, first 2 shown]
.LBB12_88:
	s_or_b64 exec, exec, s[4:5]
	v_or_b32_e32 v27, 1, v16
	v_cmp_gt_i32_e32 vcc, s14, v27
	s_and_saveexec_b64 s[4:5], vcc
	s_cbranch_execz .LBB12_94
; %bb.89:
	s_andn2_b64 vcc, exec, s[0:1]
	s_cbranch_vccnz .LBB12_91
; %bb.90:
	global_load_ushort v28, v[20:21], off offset:2
	v_mov_b32_e32 v15, v7
	v_mov_b32_e32 v12, v4
	v_mov_b32_e32 v13, v5
	v_mov_b32_e32 v14, v6
	v_mov_b32_e32 v11, v3
	v_mov_b32_e32 v10, v2
	v_mov_b32_e32 v9, v1
	v_mov_b32_e32 v8, v0
	s_waitcnt vmcnt(0)
	v_and_b32_e32 v12, 0x7fff, v28
	v_cmp_ne_u16_e32 vcc, 0, v12
	v_cndmask_b32_e64 v12, 0, 1, vcc
	v_add_co_u32_e32 v12, vcc, v4, v12
	v_addc_co_u32_e32 v13, vcc, 0, v5, vcc
	s_cbranch_execz .LBB12_92
	s_branch .LBB12_93
.LBB12_91:
                                        ; implicit-def: $vgpr8_vgpr9_vgpr10_vgpr11_vgpr12_vgpr13_vgpr14_vgpr15
.LBB12_92:
	v_mad_u64_u32 v[8:9], s[6:7], s18, v27, 0
	v_mad_u64_u32 v[9:10], s[6:7], s19, v27, v[9:10]
	v_lshlrev_b64 v[8:9], 1, v[8:9]
	v_add_co_u32_e32 v8, vcc, v24, v8
	v_addc_co_u32_e32 v9, vcc, v26, v9, vcc
	global_load_ushort v8, v[8:9], off offset:256
	s_waitcnt vmcnt(0)
	v_and_b32_e32 v8, 0x7fff, v8
	v_cmp_ne_u16_e32 vcc, 0, v8
	v_cndmask_b32_e64 v8, 0, 1, vcc
	v_add_co_u32_e32 v4, vcc, v4, v8
	v_addc_co_u32_e32 v5, vcc, 0, v5, vcc
	v_mov_b32_e32 v15, v7
	v_mov_b32_e32 v14, v6
	v_mov_b32_e32 v13, v5
	v_mov_b32_e32 v12, v4
	v_mov_b32_e32 v11, v3
	v_mov_b32_e32 v10, v2
	v_mov_b32_e32 v9, v1
	v_mov_b32_e32 v8, v0
.LBB12_93:
	v_mov_b32_e32 v0, v8
	v_mov_b32_e32 v1, v9
	v_mov_b32_e32 v2, v10
	v_mov_b32_e32 v3, v11
	v_mov_b32_e32 v4, v12
	v_mov_b32_e32 v5, v13
	v_mov_b32_e32 v6, v14
	v_mov_b32_e32 v7, v15
.LBB12_94:
	s_or_b64 exec, exec, s[4:5]
	v_or_b32_e32 v27, 2, v16
	v_cmp_gt_i32_e32 vcc, s14, v27
	s_and_saveexec_b64 s[4:5], vcc
	s_cbranch_execz .LBB12_100
; %bb.95:
	s_andn2_b64 vcc, exec, s[0:1]
	s_cbranch_vccnz .LBB12_97
; %bb.96:
	global_load_ushort v28, v[20:21], off offset:4
	v_mov_b32_e32 v15, v7
	v_mov_b32_e32 v12, v4
	v_mov_b32_e32 v13, v5
	v_mov_b32_e32 v14, v6
	v_mov_b32_e32 v11, v3
	v_mov_b32_e32 v10, v2
	v_mov_b32_e32 v9, v1
	v_mov_b32_e32 v8, v0
	s_waitcnt vmcnt(0)
	v_and_b32_e32 v12, 0x7fff, v28
	v_cmp_ne_u16_e32 vcc, 0, v12
	v_cndmask_b32_e64 v12, 0, 1, vcc
	v_add_co_u32_e32 v12, vcc, v4, v12
	v_addc_co_u32_e32 v13, vcc, 0, v5, vcc
	s_cbranch_execz .LBB12_98
	s_branch .LBB12_99
.LBB12_97:
                                        ; implicit-def: $vgpr8_vgpr9_vgpr10_vgpr11_vgpr12_vgpr13_vgpr14_vgpr15
.LBB12_98:
	v_mad_u64_u32 v[8:9], s[6:7], s18, v27, 0
	v_mad_u64_u32 v[9:10], s[6:7], s19, v27, v[9:10]
	v_lshlrev_b64 v[8:9], 1, v[8:9]
	v_add_co_u32_e32 v8, vcc, v24, v8
	v_addc_co_u32_e32 v9, vcc, v26, v9, vcc
	global_load_ushort v8, v[8:9], off offset:256
	s_waitcnt vmcnt(0)
	v_and_b32_e32 v8, 0x7fff, v8
	v_cmp_ne_u16_e32 vcc, 0, v8
	v_cndmask_b32_e64 v8, 0, 1, vcc
	v_add_co_u32_e32 v4, vcc, v4, v8
	v_addc_co_u32_e32 v5, vcc, 0, v5, vcc
	v_mov_b32_e32 v15, v7
	v_mov_b32_e32 v14, v6
	v_mov_b32_e32 v13, v5
	v_mov_b32_e32 v12, v4
	v_mov_b32_e32 v11, v3
	v_mov_b32_e32 v10, v2
	v_mov_b32_e32 v9, v1
	v_mov_b32_e32 v8, v0
.LBB12_99:
	v_mov_b32_e32 v0, v8
	v_mov_b32_e32 v1, v9
	v_mov_b32_e32 v2, v10
	v_mov_b32_e32 v3, v11
	v_mov_b32_e32 v4, v12
	v_mov_b32_e32 v5, v13
	v_mov_b32_e32 v6, v14
	v_mov_b32_e32 v7, v15
.LBB12_100:
	;; [unrolled: 59-line block ×3, first 2 shown]
	s_or_b64 exec, exec, s[4:5]
.LBB12_107:
	s_or_b64 exec, exec, s[2:3]
	v_or_b32_e32 v8, 0xc0, v18
	v_cmp_gt_i32_e32 vcc, s13, v8
	s_and_saveexec_b64 s[2:3], vcc
	s_cbranch_execz .LBB12_133
; %bb.108:
	v_ashrrev_i32_e32 v10, 31, v8
	v_mul_lo_u32 v11, s19, v8
	v_mad_u64_u32 v[8:9], s[4:5], s18, v8, 0
	v_mul_lo_u32 v10, s18, v10
	v_add3_u32 v9, v9, v10, v11
	v_lshlrev_b64 v[8:9], 1, v[8:9]
	v_mov_b32_e32 v10, s17
	v_add_co_u32_e32 v20, vcc, v17, v8
	v_addc_co_u32_e32 v21, vcc, v25, v9, vcc
	v_lshlrev_b64 v[8:9], 1, v[18:19]
	v_add_co_u32_e32 v17, vcc, s16, v8
	v_addc_co_u32_e32 v18, vcc, v10, v9, vcc
	v_cndmask_b32_e64 v8, 0, 1, s[0:1]
	v_cmp_gt_i32_e32 vcc, s14, v16
	v_cmp_ne_u32_e64 s[0:1], 1, v8
	s_and_saveexec_b64 s[4:5], vcc
	s_cbranch_execz .LBB12_114
; %bb.109:
	s_and_b64 vcc, exec, s[0:1]
	s_cbranch_vccnz .LBB12_111
; %bb.110:
	global_load_ushort v19, v[20:21], off
	v_mov_b32_e32 v15, v7
	v_mov_b32_e32 v14, v6
	;; [unrolled: 1-line block ×8, first 2 shown]
	s_waitcnt vmcnt(0)
	v_and_b32_e32 v14, 0x7fff, v19
	v_cmp_ne_u16_e32 vcc, 0, v14
	v_cndmask_b32_e64 v14, 0, 1, vcc
	v_add_co_u32_e32 v14, vcc, v6, v14
	v_addc_co_u32_e32 v15, vcc, 0, v7, vcc
	s_cbranch_execz .LBB12_112
	s_branch .LBB12_113
.LBB12_111:
                                        ; implicit-def: $vgpr8_vgpr9_vgpr10_vgpr11_vgpr12_vgpr13_vgpr14_vgpr15
.LBB12_112:
	v_mad_u64_u32 v[8:9], s[6:7], s18, v16, 0
	v_mad_u64_u32 v[9:10], s[6:7], s19, v16, v[9:10]
	v_lshlrev_b64 v[8:9], 1, v[8:9]
	v_add_co_u32_e32 v8, vcc, v17, v8
	v_addc_co_u32_e32 v9, vcc, v18, v9, vcc
	global_load_ushort v8, v[8:9], off offset:384
	s_waitcnt vmcnt(0)
	v_and_b32_e32 v8, 0x7fff, v8
	v_cmp_ne_u16_e32 vcc, 0, v8
	v_cndmask_b32_e64 v8, 0, 1, vcc
	v_add_co_u32_e32 v6, vcc, v6, v8
	v_addc_co_u32_e32 v7, vcc, 0, v7, vcc
	v_mov_b32_e32 v15, v7
	v_mov_b32_e32 v14, v6
	;; [unrolled: 1-line block ×8, first 2 shown]
.LBB12_113:
	v_mov_b32_e32 v0, v8
	v_mov_b32_e32 v1, v9
	;; [unrolled: 1-line block ×8, first 2 shown]
.LBB12_114:
	s_or_b64 exec, exec, s[4:5]
	v_or_b32_e32 v19, 1, v16
	v_cmp_gt_i32_e32 vcc, s14, v19
	s_and_saveexec_b64 s[4:5], vcc
	s_cbranch_execz .LBB12_120
; %bb.115:
	s_and_b64 vcc, exec, s[0:1]
	s_cbranch_vccnz .LBB12_117
; %bb.116:
	global_load_ushort v24, v[20:21], off offset:2
	v_mov_b32_e32 v15, v7
	v_mov_b32_e32 v14, v6
	v_mov_b32_e32 v13, v5
	v_mov_b32_e32 v12, v4
	v_mov_b32_e32 v11, v3
	v_mov_b32_e32 v10, v2
	v_mov_b32_e32 v9, v1
	v_mov_b32_e32 v8, v0
	s_waitcnt vmcnt(0)
	v_and_b32_e32 v14, 0x7fff, v24
	v_cmp_ne_u16_e32 vcc, 0, v14
	v_cndmask_b32_e64 v14, 0, 1, vcc
	v_add_co_u32_e32 v14, vcc, v6, v14
	v_addc_co_u32_e32 v15, vcc, 0, v7, vcc
	s_cbranch_execz .LBB12_118
	s_branch .LBB12_119
.LBB12_117:
                                        ; implicit-def: $vgpr8_vgpr9_vgpr10_vgpr11_vgpr12_vgpr13_vgpr14_vgpr15
.LBB12_118:
	v_mad_u64_u32 v[8:9], s[6:7], s18, v19, 0
	v_mad_u64_u32 v[9:10], s[6:7], s19, v19, v[9:10]
	v_lshlrev_b64 v[8:9], 1, v[8:9]
	v_add_co_u32_e32 v8, vcc, v17, v8
	v_addc_co_u32_e32 v9, vcc, v18, v9, vcc
	global_load_ushort v8, v[8:9], off offset:384
	s_waitcnt vmcnt(0)
	v_and_b32_e32 v8, 0x7fff, v8
	v_cmp_ne_u16_e32 vcc, 0, v8
	v_cndmask_b32_e64 v8, 0, 1, vcc
	v_add_co_u32_e32 v6, vcc, v6, v8
	v_addc_co_u32_e32 v7, vcc, 0, v7, vcc
	v_mov_b32_e32 v15, v7
	v_mov_b32_e32 v14, v6
	v_mov_b32_e32 v13, v5
	v_mov_b32_e32 v12, v4
	v_mov_b32_e32 v11, v3
	v_mov_b32_e32 v10, v2
	v_mov_b32_e32 v9, v1
	v_mov_b32_e32 v8, v0
.LBB12_119:
	v_mov_b32_e32 v0, v8
	v_mov_b32_e32 v1, v9
	v_mov_b32_e32 v2, v10
	v_mov_b32_e32 v3, v11
	v_mov_b32_e32 v4, v12
	v_mov_b32_e32 v5, v13
	v_mov_b32_e32 v6, v14
	v_mov_b32_e32 v7, v15
.LBB12_120:
	s_or_b64 exec, exec, s[4:5]
	v_or_b32_e32 v19, 2, v16
	v_cmp_gt_i32_e32 vcc, s14, v19
	s_and_saveexec_b64 s[4:5], vcc
	s_cbranch_execz .LBB12_126
; %bb.121:
	s_and_b64 vcc, exec, s[0:1]
	s_cbranch_vccnz .LBB12_123
; %bb.122:
	global_load_ushort v24, v[20:21], off offset:4
	v_mov_b32_e32 v15, v7
	v_mov_b32_e32 v14, v6
	v_mov_b32_e32 v13, v5
	v_mov_b32_e32 v12, v4
	v_mov_b32_e32 v11, v3
	v_mov_b32_e32 v10, v2
	v_mov_b32_e32 v9, v1
	v_mov_b32_e32 v8, v0
	s_waitcnt vmcnt(0)
	v_and_b32_e32 v14, 0x7fff, v24
	v_cmp_ne_u16_e32 vcc, 0, v14
	v_cndmask_b32_e64 v14, 0, 1, vcc
	v_add_co_u32_e32 v14, vcc, v6, v14
	v_addc_co_u32_e32 v15, vcc, 0, v7, vcc
	s_cbranch_execz .LBB12_124
	s_branch .LBB12_125
.LBB12_123:
                                        ; implicit-def: $vgpr8_vgpr9_vgpr10_vgpr11_vgpr12_vgpr13_vgpr14_vgpr15
.LBB12_124:
	v_mad_u64_u32 v[8:9], s[6:7], s18, v19, 0
	v_mad_u64_u32 v[9:10], s[6:7], s19, v19, v[9:10]
	v_lshlrev_b64 v[8:9], 1, v[8:9]
	v_add_co_u32_e32 v8, vcc, v17, v8
	v_addc_co_u32_e32 v9, vcc, v18, v9, vcc
	global_load_ushort v8, v[8:9], off offset:384
	s_waitcnt vmcnt(0)
	v_and_b32_e32 v8, 0x7fff, v8
	v_cmp_ne_u16_e32 vcc, 0, v8
	v_cndmask_b32_e64 v8, 0, 1, vcc
	v_add_co_u32_e32 v6, vcc, v6, v8
	v_addc_co_u32_e32 v7, vcc, 0, v7, vcc
	v_mov_b32_e32 v15, v7
	v_mov_b32_e32 v14, v6
	v_mov_b32_e32 v13, v5
	v_mov_b32_e32 v12, v4
	v_mov_b32_e32 v11, v3
	v_mov_b32_e32 v10, v2
	v_mov_b32_e32 v9, v1
	v_mov_b32_e32 v8, v0
.LBB12_125:
	v_mov_b32_e32 v0, v8
	v_mov_b32_e32 v1, v9
	v_mov_b32_e32 v2, v10
	v_mov_b32_e32 v3, v11
	v_mov_b32_e32 v4, v12
	v_mov_b32_e32 v5, v13
	v_mov_b32_e32 v6, v14
	v_mov_b32_e32 v7, v15
.LBB12_126:
	;; [unrolled: 59-line block ×3, first 2 shown]
	s_or_b64 exec, exec, s[4:5]
.LBB12_133:
	s_or_b64 exec, exec, s[2:3]
.LBB12_134:
	v_lshlrev_b32_e32 v8, 5, v22
	v_lshlrev_b32_e32 v9, 3, v23
	s_movk_i32 s0, 0xf800
	v_and_or_b32 v8, v8, s0, v9
	s_movk_i32 s0, 0x100
	v_cmp_gt_u32_e32 vcc, s0, v22
	ds_write2st64_b64 v8, v[0:1], v[2:3] offset1:1
	ds_write2st64_b64 v8, v[4:5], v[6:7] offset0:2 offset1:3
	s_waitcnt lgkmcnt(0)
	s_barrier
	s_and_saveexec_b64 s[0:1], vcc
	s_cbranch_execz .LBB12_137
; %bb.135:
	v_lshlrev_b32_e32 v9, 3, v22
	ds_read2st64_b64 v[1:4], v9 offset1:4
	ds_read2st64_b64 v[5:8], v9 offset0:8 offset1:12
	v_add_u32_e32 v0, s15, v22
	s_waitcnt lgkmcnt(1)
	v_add_co_u32_e32 v1, vcc, v1, v3
	v_addc_co_u32_e32 v2, vcc, v2, v4, vcc
	s_waitcnt lgkmcnt(0)
	v_add_co_u32_e32 v5, vcc, v1, v5
	v_addc_co_u32_e32 v6, vcc, v2, v6, vcc
	ds_read2st64_b64 v[1:4], v9 offset0:16 offset1:20
	v_add_co_u32_e32 v5, vcc, v5, v7
	v_addc_co_u32_e32 v6, vcc, v6, v8, vcc
	s_waitcnt lgkmcnt(0)
	v_add_co_u32_e32 v1, vcc, v5, v1
	v_addc_co_u32_e32 v2, vcc, v6, v2, vcc
	ds_read2st64_b64 v[5:8], v9 offset0:24 offset1:28
	;; [unrolled: 6-line block ×6, first 2 shown]
	v_add_co_u32_e32 v1, vcc, v1, v3
	v_addc_co_u32_e32 v2, vcc, v2, v4, vcc
	s_waitcnt lgkmcnt(0)
	v_add_co_u32_e32 v1, vcc, v1, v5
	v_addc_co_u32_e32 v3, vcc, v2, v6, vcc
	v_add_co_u32_e32 v2, vcc, v1, v7
	v_addc_co_u32_e32 v3, vcc, v3, v8, vcc
	v_cmp_gt_i32_e32 vcc, s13, v0
	ds_write_b64 v9, v[2:3]
	s_and_b64 exec, exec, vcc
	s_cbranch_execz .LBB12_137
; %bb.136:
	v_ashrrev_i32_e32 v1, 31, v0
	v_lshlrev_b64 v[0:1], 3, v[0:1]
	v_mov_b32_e32 v4, s21
	v_add_co_u32_e32 v0, vcc, s20, v0
	v_addc_co_u32_e32 v1, vcc, v4, v1, vcc
	global_store_dwordx2 v[0:1], v[2:3], off
.LBB12_137:
	s_endpgm
	.section	.rodata,"a",@progbits
	.p2align	6, 0x0
	.amdhsa_kernel _ZN9rocsparseL14nnz_kernel_rowILi64ELi16Eli18rocsparse_bfloat16EEv16rocsparse_order_T2_S3_PKT3_lPT1_
		.amdhsa_group_segment_fixed_size 32768
		.amdhsa_private_segment_fixed_size 0
		.amdhsa_kernarg_size 296
		.amdhsa_user_sgpr_count 6
		.amdhsa_user_sgpr_private_segment_buffer 1
		.amdhsa_user_sgpr_dispatch_ptr 0
		.amdhsa_user_sgpr_queue_ptr 0
		.amdhsa_user_sgpr_kernarg_segment_ptr 1
		.amdhsa_user_sgpr_dispatch_id 0
		.amdhsa_user_sgpr_flat_scratch_init 0
		.amdhsa_user_sgpr_private_segment_size 0
		.amdhsa_uses_dynamic_stack 0
		.amdhsa_system_sgpr_private_segment_wavefront_offset 0
		.amdhsa_system_sgpr_workgroup_id_x 1
		.amdhsa_system_sgpr_workgroup_id_y 0
		.amdhsa_system_sgpr_workgroup_id_z 0
		.amdhsa_system_sgpr_workgroup_info 0
		.amdhsa_system_vgpr_workitem_id 1
		.amdhsa_next_free_vgpr 37
		.amdhsa_next_free_sgpr 61
		.amdhsa_reserve_vcc 1
		.amdhsa_reserve_flat_scratch 0
		.amdhsa_float_round_mode_32 0
		.amdhsa_float_round_mode_16_64 0
		.amdhsa_float_denorm_mode_32 3
		.amdhsa_float_denorm_mode_16_64 3
		.amdhsa_dx10_clamp 1
		.amdhsa_ieee_mode 1
		.amdhsa_fp16_overflow 0
		.amdhsa_exception_fp_ieee_invalid_op 0
		.amdhsa_exception_fp_denorm_src 0
		.amdhsa_exception_fp_ieee_div_zero 0
		.amdhsa_exception_fp_ieee_overflow 0
		.amdhsa_exception_fp_ieee_underflow 0
		.amdhsa_exception_fp_ieee_inexact 0
		.amdhsa_exception_int_div_zero 0
	.end_amdhsa_kernel
	.section	.text._ZN9rocsparseL14nnz_kernel_rowILi64ELi16Eli18rocsparse_bfloat16EEv16rocsparse_order_T2_S3_PKT3_lPT1_,"axG",@progbits,_ZN9rocsparseL14nnz_kernel_rowILi64ELi16Eli18rocsparse_bfloat16EEv16rocsparse_order_T2_S3_PKT3_lPT1_,comdat
.Lfunc_end12:
	.size	_ZN9rocsparseL14nnz_kernel_rowILi64ELi16Eli18rocsparse_bfloat16EEv16rocsparse_order_T2_S3_PKT3_lPT1_, .Lfunc_end12-_ZN9rocsparseL14nnz_kernel_rowILi64ELi16Eli18rocsparse_bfloat16EEv16rocsparse_order_T2_S3_PKT3_lPT1_
                                        ; -- End function
	.set _ZN9rocsparseL14nnz_kernel_rowILi64ELi16Eli18rocsparse_bfloat16EEv16rocsparse_order_T2_S3_PKT3_lPT1_.num_vgpr, 37
	.set _ZN9rocsparseL14nnz_kernel_rowILi64ELi16Eli18rocsparse_bfloat16EEv16rocsparse_order_T2_S3_PKT3_lPT1_.num_agpr, 0
	.set _ZN9rocsparseL14nnz_kernel_rowILi64ELi16Eli18rocsparse_bfloat16EEv16rocsparse_order_T2_S3_PKT3_lPT1_.numbered_sgpr, 35
	.set _ZN9rocsparseL14nnz_kernel_rowILi64ELi16Eli18rocsparse_bfloat16EEv16rocsparse_order_T2_S3_PKT3_lPT1_.num_named_barrier, 0
	.set _ZN9rocsparseL14nnz_kernel_rowILi64ELi16Eli18rocsparse_bfloat16EEv16rocsparse_order_T2_S3_PKT3_lPT1_.private_seg_size, 0
	.set _ZN9rocsparseL14nnz_kernel_rowILi64ELi16Eli18rocsparse_bfloat16EEv16rocsparse_order_T2_S3_PKT3_lPT1_.uses_vcc, 1
	.set _ZN9rocsparseL14nnz_kernel_rowILi64ELi16Eli18rocsparse_bfloat16EEv16rocsparse_order_T2_S3_PKT3_lPT1_.uses_flat_scratch, 0
	.set _ZN9rocsparseL14nnz_kernel_rowILi64ELi16Eli18rocsparse_bfloat16EEv16rocsparse_order_T2_S3_PKT3_lPT1_.has_dyn_sized_stack, 0
	.set _ZN9rocsparseL14nnz_kernel_rowILi64ELi16Eli18rocsparse_bfloat16EEv16rocsparse_order_T2_S3_PKT3_lPT1_.has_recursion, 0
	.set _ZN9rocsparseL14nnz_kernel_rowILi64ELi16Eli18rocsparse_bfloat16EEv16rocsparse_order_T2_S3_PKT3_lPT1_.has_indirect_call, 0
	.section	.AMDGPU.csdata,"",@progbits
; Kernel info:
; codeLenInByte = 7508
; TotalNumSgprs: 39
; NumVgprs: 37
; ScratchSize: 0
; MemoryBound: 0
; FloatMode: 240
; IeeeMode: 1
; LDSByteSize: 32768 bytes/workgroup (compile time only)
; SGPRBlocks: 8
; VGPRBlocks: 9
; NumSGPRsForWavesPerEU: 65
; NumVGPRsForWavesPerEU: 37
; Occupancy: 6
; WaveLimiterHint : 0
; COMPUTE_PGM_RSRC2:SCRATCH_EN: 0
; COMPUTE_PGM_RSRC2:USER_SGPR: 6
; COMPUTE_PGM_RSRC2:TRAP_HANDLER: 0
; COMPUTE_PGM_RSRC2:TGID_X_EN: 1
; COMPUTE_PGM_RSRC2:TGID_Y_EN: 0
; COMPUTE_PGM_RSRC2:TGID_Z_EN: 0
; COMPUTE_PGM_RSRC2:TIDIG_COMP_CNT: 1
	.section	.text._ZN9rocsparseL14nnz_kernel_colILi256Eli18rocsparse_bfloat16EEv16rocsparse_order_T1_S3_PKT2_lPT0_,"axG",@progbits,_ZN9rocsparseL14nnz_kernel_colILi256Eli18rocsparse_bfloat16EEv16rocsparse_order_T1_S3_PKT2_lPT0_,comdat
	.globl	_ZN9rocsparseL14nnz_kernel_colILi256Eli18rocsparse_bfloat16EEv16rocsparse_order_T1_S3_PKT2_lPT0_ ; -- Begin function _ZN9rocsparseL14nnz_kernel_colILi256Eli18rocsparse_bfloat16EEv16rocsparse_order_T1_S3_PKT2_lPT0_
	.p2align	8
	.type	_ZN9rocsparseL14nnz_kernel_colILi256Eli18rocsparse_bfloat16EEv16rocsparse_order_T1_S3_PKT2_lPT0_,@function
_ZN9rocsparseL14nnz_kernel_colILi256Eli18rocsparse_bfloat16EEv16rocsparse_order_T1_S3_PKT2_lPT0_: ; @_ZN9rocsparseL14nnz_kernel_colILi256Eli18rocsparse_bfloat16EEv16rocsparse_order_T1_S3_PKT2_lPT0_
; %bb.0:
	s_load_dwordx2 s[8:9], s[4:5], 0x0
	s_load_dwordx4 s[0:3], s[4:5], 0x10
	s_waitcnt lgkmcnt(0)
	s_ashr_i32 s7, s9, 31
	s_lshr_b32 s7, s7, 24
	s_add_i32 s7, s9, s7
	s_and_b32 s10, s7, 0xffffff00
	s_cmp_eq_u32 s8, 1
	s_cbranch_scc1 .LBB13_6
; %bb.1:
	v_mov_b32_e32 v1, 0
	v_mov_b32_e32 v2, 0
	s_cmpk_lt_i32 s9, 0x100
	s_cbranch_scc1 .LBB13_7
; %bb.2:
	v_mad_u64_u32 v[1:2], s[12:13], s2, v0, 0
	s_ashr_i32 s7, s6, 31
	v_mad_u64_u32 v[2:3], s[12:13], s3, v0, v[2:3]
	s_lshl_b64 s[12:13], s[6:7], 1
	s_add_u32 s7, s0, s12
	v_lshlrev_b64 v[1:2], 1, v[1:2]
	s_addc_u32 s8, s1, s13
	v_mov_b32_e32 v4, s8
	v_add_co_u32_e32 v3, vcc, s7, v1
	v_addc_co_u32_e32 v4, vcc, v4, v2, vcc
	s_lshl_b64 s[12:13], s[2:3], 9
	v_mov_b32_e32 v1, 0
	s_mov_b32 s7, 0
	v_mov_b32_e32 v2, 0
	v_mov_b32_e32 v5, s13
	s_branch .LBB13_4
.LBB13_3:                               ;   in Loop: Header=BB13_4 Depth=1
	s_or_b64 exec, exec, s[14:15]
	s_addk_i32 s7, 0x100
	v_add_co_u32_e32 v3, vcc, s12, v3
	s_cmp_ge_i32 s7, s10
	v_addc_co_u32_e32 v4, vcc, v4, v5, vcc
	s_cbranch_scc1 .LBB13_7
.LBB13_4:                               ; =>This Inner Loop Header: Depth=1
	v_add_u32_e32 v6, s7, v0
	v_cmp_gt_i32_e32 vcc, s9, v6
	s_and_saveexec_b64 s[14:15], vcc
	s_cbranch_execz .LBB13_3
; %bb.5:                                ;   in Loop: Header=BB13_4 Depth=1
	global_load_ushort v6, v[3:4], off
	s_waitcnt vmcnt(0)
	v_and_b32_e32 v6, 0x7fff, v6
	v_cmp_ne_u16_e32 vcc, 0, v6
	v_cndmask_b32_e64 v6, 0, 1, vcc
	v_add_co_u32_e32 v1, vcc, v1, v6
	v_addc_co_u32_e32 v2, vcc, 0, v2, vcc
	s_branch .LBB13_3
.LBB13_6:
                                        ; implicit-def: $vgpr1_vgpr2
	s_load_dwordx2 s[4:5], s[4:5], 0x20
	s_cbranch_execnz .LBB13_10
	s_branch .LBB13_16
.LBB13_7:
	v_add_u32_e32 v3, s10, v0
	v_cmp_gt_i32_e32 vcc, s9, v3
	s_and_saveexec_b64 s[12:13], vcc
	s_cbranch_execz .LBB13_9
; %bb.8:
	v_ashrrev_i32_e32 v4, 31, v3
	v_mul_lo_u32 v5, s3, v3
	v_mul_lo_u32 v6, s2, v4
	v_mad_u64_u32 v[3:4], s[14:15], s2, v3, 0
	s_ashr_i32 s7, s6, 31
	s_lshl_b64 s[14:15], s[6:7], 1
	v_add3_u32 v4, v4, v6, v5
	v_lshlrev_b64 v[3:4], 1, v[3:4]
	v_mov_b32_e32 v5, s1
	v_add_co_u32_e32 v3, vcc, s0, v3
	v_addc_co_u32_e32 v4, vcc, v5, v4, vcc
	v_mov_b32_e32 v5, s15
	v_add_co_u32_e32 v3, vcc, s14, v3
	v_addc_co_u32_e32 v4, vcc, v4, v5, vcc
	global_load_ushort v3, v[3:4], off
	s_waitcnt vmcnt(0)
	v_and_b32_e32 v3, 0x7fff, v3
	v_cmp_ne_u16_e32 vcc, 0, v3
	v_cndmask_b32_e64 v3, 0, 1, vcc
	v_add_co_u32_e32 v1, vcc, v1, v3
	v_addc_co_u32_e32 v2, vcc, 0, v2, vcc
.LBB13_9:
	s_or_b64 exec, exec, s[12:13]
	s_load_dwordx2 s[4:5], s[4:5], 0x20
	s_branch .LBB13_16
.LBB13_10:
	s_ashr_i32 s7, s6, 31
	s_mul_hi_u32 s8, s2, s6
	s_mul_i32 s7, s2, s7
	s_add_i32 s7, s8, s7
	s_mul_i32 s3, s3, s6
	s_add_i32 s13, s7, s3
	s_mul_i32 s12, s2, s6
	v_cmp_gt_i32_e32 vcc, s9, v0
	s_lshl_b64 s[12:13], s[12:13], 1
	v_cndmask_b32_e32 v1, 0, v0, vcc
	s_add_u32 s0, s0, s12
	s_addc_u32 s1, s1, s13
	v_lshlrev_b32_e32 v3, 1, v1
	v_mov_b32_e32 v4, s1
	v_mov_b32_e32 v1, 0
	v_add_co_u32_e32 v3, vcc, s0, v3
	s_mov_b32 s2, 0
	v_mov_b32_e32 v2, 0
	s_cmpk_lt_i32 s9, 0x100
	v_addc_co_u32_e32 v4, vcc, 0, v4, vcc
	s_cbranch_scc1 .LBB13_13
; %bb.11:
	v_mov_b32_e32 v1, 0
	v_mov_b32_e32 v6, v4
	;; [unrolled: 1-line block ×4, first 2 shown]
.LBB13_12:                              ; =>This Inner Loop Header: Depth=1
	global_load_ushort v7, v[5:6], off
	v_add_co_u32_e32 v5, vcc, 0x200, v5
	v_addc_co_u32_e32 v6, vcc, 0, v6, vcc
	s_addk_i32 s2, 0x100
	s_cmp_ge_i32 s2, s10
	s_waitcnt vmcnt(0)
	v_and_b32_e32 v7, 0x7fff, v7
	v_cmp_ne_u16_e32 vcc, 0, v7
	v_cndmask_b32_e64 v7, 0, 1, vcc
	v_add_co_u32_e32 v1, vcc, v1, v7
	v_addc_co_u32_e32 v2, vcc, 0, v2, vcc
	s_cbranch_scc0 .LBB13_12
.LBB13_13:
	v_add_u32_e32 v5, s10, v0
	v_cmp_gt_i32_e32 vcc, s9, v5
	s_and_saveexec_b64 s[0:1], vcc
	s_cbranch_execz .LBB13_15
; %bb.14:
	s_ashr_i32 s11, s10, 31
	s_lshl_b64 s[2:3], s[10:11], 1
	v_mov_b32_e32 v5, s3
	v_add_co_u32_e32 v3, vcc, s2, v3
	v_addc_co_u32_e32 v4, vcc, v4, v5, vcc
	global_load_ushort v3, v[3:4], off
	s_waitcnt vmcnt(0)
	v_and_b32_e32 v3, 0x7fff, v3
	v_cmp_ne_u16_e32 vcc, 0, v3
	v_cndmask_b32_e64 v3, 0, 1, vcc
	v_add_co_u32_e32 v1, vcc, v1, v3
	v_addc_co_u32_e32 v2, vcc, 0, v2, vcc
.LBB13_15:
	s_or_b64 exec, exec, s[0:1]
.LBB13_16:
	v_lshlrev_b32_e32 v3, 3, v0
	s_cmpk_lt_i32 s9, 0x100
	s_mov_b64 s[0:1], -1
	v_cmp_eq_u32_e32 vcc, 0, v0
	ds_write_b64 v3, v[1:2]
	s_waitcnt lgkmcnt(0)
	s_cbranch_scc1 .LBB13_20
; %bb.17:
	s_and_b64 vcc, exec, s[0:1]
	s_cbranch_vccnz .LBB13_30
.LBB13_18:
	v_cmp_eq_u32_e32 vcc, 0, v0
	s_and_saveexec_b64 s[0:1], vcc
	s_cbranch_execnz .LBB13_47
.LBB13_19:
	s_endpgm
.LBB13_20:
	s_cmp_gt_i32 s9, 1
	s_cselect_b64 s[0:1], -1, 0
	s_mov_b32 s3, 1
	s_and_b64 s[10:11], vcc, s[0:1]
	s_barrier
	s_and_saveexec_b64 s[0:1], s[10:11]
	s_cbranch_execz .LBB13_29
; %bb.21:
	v_mov_b32_e32 v1, 0
	ds_read_b64 v[1:2], v1
	s_add_i32 s2, s9, -1
	s_add_i32 s7, s9, -2
	s_cmp_lt_u32 s7, 7
	s_cbranch_scc1 .LBB13_25
; %bb.22:
	s_and_b32 s3, s2, -8
	s_mov_b32 s8, 0
	s_mov_b32 s7, 8
.LBB13_23:                              ; =>This Inner Loop Header: Depth=1
	v_mov_b32_e32 v16, s7
	ds_read2_b64 v[4:7], v16 offset1:1
	ds_read2_b64 v[8:11], v16 offset0:2 offset1:3
	ds_read2_b64 v[12:15], v16 offset0:4 offset1:5
	;; [unrolled: 1-line block ×3, first 2 shown]
	s_mov_b32 s9, s8
	s_waitcnt lgkmcnt(3)
	v_add_co_u32_e32 v1, vcc, v1, v4
	v_addc_co_u32_e32 v2, vcc, v2, v5, vcc
	v_add_co_u32_e32 v1, vcc, v1, v6
	v_addc_co_u32_e32 v2, vcc, v2, v7, vcc
	s_waitcnt lgkmcnt(2)
	v_add_co_u32_e32 v1, vcc, v1, v8
	v_addc_co_u32_e32 v2, vcc, v2, v9, vcc
	v_add_co_u32_e32 v1, vcc, v1, v10
	v_addc_co_u32_e32 v2, vcc, v2, v11, vcc
	;; [unrolled: 5-line block ×3, first 2 shown]
	s_waitcnt lgkmcnt(0)
	v_add_co_u32_e32 v1, vcc, v1, v16
	v_addc_co_u32_e32 v2, vcc, v2, v17, vcc
	s_add_i32 s7, s7, 64
	s_add_i32 s8, s8, 8
	v_add_co_u32_e32 v1, vcc, v1, v18
	s_cmp_lg_u32 s3, s8
	v_addc_co_u32_e32 v2, vcc, v2, v19, vcc
	s_cbranch_scc1 .LBB13_23
; %bb.24:
	s_add_i32 s3, s9, 9
.LBB13_25:
	s_and_b32 s2, s2, 7
	s_cmp_eq_u32 s2, 0
	s_cbranch_scc1 .LBB13_28
; %bb.26:
	s_lshl_b32 s3, s3, 3
.LBB13_27:                              ; =>This Inner Loop Header: Depth=1
	v_mov_b32_e32 v4, s3
	ds_read_b64 v[4:5], v4
	s_add_i32 s3, s3, 8
	s_add_i32 s2, s2, -1
	s_cmp_lg_u32 s2, 0
	s_waitcnt lgkmcnt(0)
	v_add_co_u32_e32 v1, vcc, v1, v4
	v_addc_co_u32_e32 v2, vcc, v2, v5, vcc
	s_cbranch_scc1 .LBB13_27
.LBB13_28:
	v_mov_b32_e32 v4, 0
	s_waitcnt lgkmcnt(0)
	ds_write_b64 v4, v[1:2]
.LBB13_29:
	s_or_b64 exec, exec, s[0:1]
	s_waitcnt lgkmcnt(0)
	s_barrier
	s_branch .LBB13_18
.LBB13_30:
	s_movk_i32 s0, 0x80
	v_cmp_gt_u32_e32 vcc, s0, v0
	s_barrier
	s_and_saveexec_b64 s[0:1], vcc
	s_cbranch_execz .LBB13_32
; %bb.31:
	ds_read2st64_b64 v[4:7], v3 offset1:2
	s_waitcnt lgkmcnt(0)
	v_add_co_u32_e32 v1, vcc, v4, v6
	v_addc_co_u32_e32 v2, vcc, v5, v7, vcc
	ds_write_b64 v3, v[1:2]
.LBB13_32:
	s_or_b64 exec, exec, s[0:1]
	v_cmp_gt_u32_e32 vcc, 64, v0
	s_waitcnt lgkmcnt(0)
	s_barrier
	s_and_saveexec_b64 s[0:1], vcc
	s_cbranch_execz .LBB13_34
; %bb.33:
	ds_read2st64_b64 v[4:7], v3 offset1:1
	s_waitcnt lgkmcnt(0)
	v_add_co_u32_e32 v1, vcc, v4, v6
	v_addc_co_u32_e32 v2, vcc, v5, v7, vcc
	ds_write_b64 v3, v[1:2]
.LBB13_34:
	s_or_b64 exec, exec, s[0:1]
	v_cmp_gt_u32_e32 vcc, 32, v0
	s_waitcnt lgkmcnt(0)
	s_barrier
	s_and_saveexec_b64 s[0:1], vcc
	s_cbranch_execz .LBB13_36
; %bb.35:
	ds_read2_b64 v[4:7], v3 offset1:32
	s_waitcnt lgkmcnt(0)
	v_add_co_u32_e32 v1, vcc, v4, v6
	v_addc_co_u32_e32 v2, vcc, v5, v7, vcc
	ds_write_b64 v3, v[1:2]
.LBB13_36:
	s_or_b64 exec, exec, s[0:1]
	v_cmp_gt_u32_e32 vcc, 16, v0
	s_waitcnt lgkmcnt(0)
	s_barrier
	s_and_saveexec_b64 s[0:1], vcc
	s_cbranch_execz .LBB13_38
; %bb.37:
	ds_read2_b64 v[4:7], v3 offset1:16
	s_waitcnt lgkmcnt(0)
	v_add_co_u32_e32 v1, vcc, v4, v6
	v_addc_co_u32_e32 v2, vcc, v5, v7, vcc
	ds_write_b64 v3, v[1:2]
.LBB13_38:
	;; [unrolled: 13-line block ×5, first 2 shown]
	s_or_b64 exec, exec, s[0:1]
	v_cmp_eq_u32_e32 vcc, 0, v0
	s_waitcnt lgkmcnt(0)
	s_barrier
	s_and_saveexec_b64 s[0:1], vcc
	s_cbranch_execz .LBB13_46
; %bb.45:
	v_mov_b32_e32 v5, 0
	ds_read_b128 v[1:4], v5
	s_waitcnt lgkmcnt(0)
	v_add_co_u32_e32 v1, vcc, v1, v3
	v_addc_co_u32_e32 v2, vcc, v2, v4, vcc
	ds_write_b64 v5, v[1:2]
.LBB13_46:
	s_or_b64 exec, exec, s[0:1]
	s_waitcnt lgkmcnt(0)
	s_barrier
	v_cmp_eq_u32_e32 vcc, 0, v0
	s_and_saveexec_b64 s[0:1], vcc
	s_cbranch_execz .LBB13_19
.LBB13_47:
	v_mov_b32_e32 v2, 0
	ds_read_b64 v[0:1], v2
	s_ashr_i32 s7, s6, 31
	s_lshl_b64 s[0:1], s[6:7], 3
	s_add_u32 s0, s4, s0
	s_addc_u32 s1, s5, s1
	s_waitcnt lgkmcnt(0)
	global_store_dwordx2 v2, v[0:1], s[0:1]
	s_endpgm
	.section	.rodata,"a",@progbits
	.p2align	6, 0x0
	.amdhsa_kernel _ZN9rocsparseL14nnz_kernel_colILi256Eli18rocsparse_bfloat16EEv16rocsparse_order_T1_S3_PKT2_lPT0_
		.amdhsa_group_segment_fixed_size 2048
		.amdhsa_private_segment_fixed_size 0
		.amdhsa_kernarg_size 40
		.amdhsa_user_sgpr_count 6
		.amdhsa_user_sgpr_private_segment_buffer 1
		.amdhsa_user_sgpr_dispatch_ptr 0
		.amdhsa_user_sgpr_queue_ptr 0
		.amdhsa_user_sgpr_kernarg_segment_ptr 1
		.amdhsa_user_sgpr_dispatch_id 0
		.amdhsa_user_sgpr_flat_scratch_init 0
		.amdhsa_user_sgpr_private_segment_size 0
		.amdhsa_uses_dynamic_stack 0
		.amdhsa_system_sgpr_private_segment_wavefront_offset 0
		.amdhsa_system_sgpr_workgroup_id_x 1
		.amdhsa_system_sgpr_workgroup_id_y 0
		.amdhsa_system_sgpr_workgroup_id_z 0
		.amdhsa_system_sgpr_workgroup_info 0
		.amdhsa_system_vgpr_workitem_id 0
		.amdhsa_next_free_vgpr 20
		.amdhsa_next_free_sgpr 16
		.amdhsa_reserve_vcc 1
		.amdhsa_reserve_flat_scratch 0
		.amdhsa_float_round_mode_32 0
		.amdhsa_float_round_mode_16_64 0
		.amdhsa_float_denorm_mode_32 3
		.amdhsa_float_denorm_mode_16_64 3
		.amdhsa_dx10_clamp 1
		.amdhsa_ieee_mode 1
		.amdhsa_fp16_overflow 0
		.amdhsa_exception_fp_ieee_invalid_op 0
		.amdhsa_exception_fp_denorm_src 0
		.amdhsa_exception_fp_ieee_div_zero 0
		.amdhsa_exception_fp_ieee_overflow 0
		.amdhsa_exception_fp_ieee_underflow 0
		.amdhsa_exception_fp_ieee_inexact 0
		.amdhsa_exception_int_div_zero 0
	.end_amdhsa_kernel
	.section	.text._ZN9rocsparseL14nnz_kernel_colILi256Eli18rocsparse_bfloat16EEv16rocsparse_order_T1_S3_PKT2_lPT0_,"axG",@progbits,_ZN9rocsparseL14nnz_kernel_colILi256Eli18rocsparse_bfloat16EEv16rocsparse_order_T1_S3_PKT2_lPT0_,comdat
.Lfunc_end13:
	.size	_ZN9rocsparseL14nnz_kernel_colILi256Eli18rocsparse_bfloat16EEv16rocsparse_order_T1_S3_PKT2_lPT0_, .Lfunc_end13-_ZN9rocsparseL14nnz_kernel_colILi256Eli18rocsparse_bfloat16EEv16rocsparse_order_T1_S3_PKT2_lPT0_
                                        ; -- End function
	.set _ZN9rocsparseL14nnz_kernel_colILi256Eli18rocsparse_bfloat16EEv16rocsparse_order_T1_S3_PKT2_lPT0_.num_vgpr, 20
	.set _ZN9rocsparseL14nnz_kernel_colILi256Eli18rocsparse_bfloat16EEv16rocsparse_order_T1_S3_PKT2_lPT0_.num_agpr, 0
	.set _ZN9rocsparseL14nnz_kernel_colILi256Eli18rocsparse_bfloat16EEv16rocsparse_order_T1_S3_PKT2_lPT0_.numbered_sgpr, 16
	.set _ZN9rocsparseL14nnz_kernel_colILi256Eli18rocsparse_bfloat16EEv16rocsparse_order_T1_S3_PKT2_lPT0_.num_named_barrier, 0
	.set _ZN9rocsparseL14nnz_kernel_colILi256Eli18rocsparse_bfloat16EEv16rocsparse_order_T1_S3_PKT2_lPT0_.private_seg_size, 0
	.set _ZN9rocsparseL14nnz_kernel_colILi256Eli18rocsparse_bfloat16EEv16rocsparse_order_T1_S3_PKT2_lPT0_.uses_vcc, 1
	.set _ZN9rocsparseL14nnz_kernel_colILi256Eli18rocsparse_bfloat16EEv16rocsparse_order_T1_S3_PKT2_lPT0_.uses_flat_scratch, 0
	.set _ZN9rocsparseL14nnz_kernel_colILi256Eli18rocsparse_bfloat16EEv16rocsparse_order_T1_S3_PKT2_lPT0_.has_dyn_sized_stack, 0
	.set _ZN9rocsparseL14nnz_kernel_colILi256Eli18rocsparse_bfloat16EEv16rocsparse_order_T1_S3_PKT2_lPT0_.has_recursion, 0
	.set _ZN9rocsparseL14nnz_kernel_colILi256Eli18rocsparse_bfloat16EEv16rocsparse_order_T1_S3_PKT2_lPT0_.has_indirect_call, 0
	.section	.AMDGPU.csdata,"",@progbits
; Kernel info:
; codeLenInByte = 1468
; TotalNumSgprs: 20
; NumVgprs: 20
; ScratchSize: 0
; MemoryBound: 0
; FloatMode: 240
; IeeeMode: 1
; LDSByteSize: 2048 bytes/workgroup (compile time only)
; SGPRBlocks: 2
; VGPRBlocks: 4
; NumSGPRsForWavesPerEU: 20
; NumVGPRsForWavesPerEU: 20
; Occupancy: 10
; WaveLimiterHint : 0
; COMPUTE_PGM_RSRC2:SCRATCH_EN: 0
; COMPUTE_PGM_RSRC2:USER_SGPR: 6
; COMPUTE_PGM_RSRC2:TRAP_HANDLER: 0
; COMPUTE_PGM_RSRC2:TGID_X_EN: 1
; COMPUTE_PGM_RSRC2:TGID_Y_EN: 0
; COMPUTE_PGM_RSRC2:TGID_Z_EN: 0
; COMPUTE_PGM_RSRC2:TIDIG_COMP_CNT: 0
	.section	.text._ZN9rocsparseL14nnz_kernel_rowILi64ELi16EliDF16_EEv16rocsparse_order_T2_S2_PKT3_lPT1_,"axG",@progbits,_ZN9rocsparseL14nnz_kernel_rowILi64ELi16EliDF16_EEv16rocsparse_order_T2_S2_PKT3_lPT1_,comdat
	.globl	_ZN9rocsparseL14nnz_kernel_rowILi64ELi16EliDF16_EEv16rocsparse_order_T2_S2_PKT3_lPT1_ ; -- Begin function _ZN9rocsparseL14nnz_kernel_rowILi64ELi16EliDF16_EEv16rocsparse_order_T2_S2_PKT3_lPT1_
	.p2align	8
	.type	_ZN9rocsparseL14nnz_kernel_rowILi64ELi16EliDF16_EEv16rocsparse_order_T2_S2_PKT3_lPT1_,@function
_ZN9rocsparseL14nnz_kernel_rowILi64ELi16EliDF16_EEv16rocsparse_order_T2_S2_PKT3_lPT1_: ; @_ZN9rocsparseL14nnz_kernel_rowILi64ELi16EliDF16_EEv16rocsparse_order_T2_S2_PKT3_lPT1_
; %bb.0:
	s_load_dword s0, s[4:5], 0x34
	s_load_dwordx2 s[20:21], s[4:5], 0x20
	s_load_dwordx8 s[12:19], s[4:5], 0x0
	s_waitcnt lgkmcnt(0)
	s_lshl_b32 s15, s6, 8
	v_mov_b32_e32 v8, 0
	s_and_b32 s0, s0, 0xffff
	v_mad_u32_u24 v23, v1, s0, v0
	s_ashr_i32 s0, s14, 31
	s_lshr_b32 s0, s0, 26
	v_and_b32_e32 v24, 63, v23
	s_add_i32 s33, s14, s0
	v_lshrrev_b32_e32 v0, 4, v23
	v_or_b32_e32 v19, s15, v24
	s_andn2_b32 s33, s33, 63
	v_and_b32_e32 v17, 0x7ffffc, v0
	v_mov_b32_e32 v9, v8
	v_mov_b32_e32 v10, v8
	;; [unrolled: 1-line block ×8, first 2 shown]
	v_cmp_gt_i32_e32 vcc, s33, v17
	v_or_b32_e32 v25, 64, v19
	v_mov_b32_e32 v1, v9
	v_mov_b32_e32 v2, v10
	;; [unrolled: 1-line block ×7, first 2 shown]
	s_and_saveexec_b64 s[22:23], vcc
	s_cbranch_execz .LBB14_28
; %bb.1:
	v_lshrrev_b32_e32 v0, 6, v23
	v_lshlrev_b32_e32 v12, 2, v0
	v_or_b32_e32 v5, 3, v12
	v_or_b32_e32 v9, 2, v12
	v_mad_u64_u32 v[1:2], s[0:1], s18, v5, 0
	v_mad_u64_u32 v[3:4], s[0:1], s18, v9, 0
	s_cmp_lg_u32 s12, 1
	s_cselect_b64 s[24:25], -1, 0
	v_mad_u64_u32 v[5:6], s[0:1], s19, v5, v[2:3]
	v_mov_b32_e32 v6, s18
	v_mov_b32_e32 v2, v4
	v_mov_b32_e32 v7, s19
	v_mad_u64_u32 v[6:7], s[0:1], s18, v12, v[6:7]
	v_mad_u64_u32 v[9:10], s[0:1], s19, v9, v[2:3]
	;; [unrolled: 1-line block ×3, first 2 shown]
	v_mov_b32_e32 v2, v7
	v_mad_u64_u32 v[12:13], s[0:1], s19, v12, v[2:3]
	v_mov_b32_e32 v2, v11
	v_mad_u64_u32 v[13:14], s[0:1], s19, v0, v[2:3]
	v_mov_b32_e32 v7, v12
	v_add_u32_e32 v12, s15, v24
	v_mov_b32_e32 v2, v5
	v_mov_b32_e32 v11, v13
	v_ashrrev_i32_e32 v13, 31, v12
	v_lshlrev_b64 v[1:2], 1, v[1:2]
	v_lshlrev_b64 v[14:15], 1, v[12:13]
	v_mov_b32_e32 v4, v9
	v_add_co_u32_e32 v18, vcc, v1, v14
	v_addc_co_u32_e32 v20, vcc, v2, v15, vcc
	v_lshlrev_b64 v[1:2], 1, v[3:4]
	v_mul_lo_u32 v5, s18, v13
	v_add_co_u32_e32 v21, vcc, v1, v14
	v_addc_co_u32_e32 v22, vcc, v2, v15, vcc
	v_lshlrev_b64 v[1:2], 1, v[6:7]
	v_mul_lo_u32 v6, s19, v12
	v_add_co_u32_e32 v26, vcc, v1, v14
	v_addc_co_u32_e32 v27, vcc, v2, v15, vcc
	v_lshlrev_b64 v[1:2], 3, v[10:11]
	v_mad_u64_u32 v[3:4], s[0:1], s18, v12, 0
	v_add_co_u32_e32 v28, vcc, v1, v14
	v_add_u32_e32 v1, 64, v12
	v_addc_co_u32_e32 v29, vcc, v2, v15, vcc
	v_ashrrev_i32_e32 v2, 31, v1
	v_mul_lo_u32 v7, s18, v2
	v_mul_lo_u32 v11, s19, v1
	v_mad_u64_u32 v[1:2], s[0:1], s18, v1, 0
	v_add3_u32 v4, v4, v5, v6
	v_add_u32_e32 v5, 0x80, v12
	v_add_u32_e32 v9, 0xc0, v12
	v_ashrrev_i32_e32 v6, 31, v5
	v_ashrrev_i32_e32 v10, 31, v9
	v_mul_lo_u32 v13, s18, v6
	v_mul_lo_u32 v14, s19, v5
	v_mad_u64_u32 v[5:6], s[0:1], s18, v5, 0
	v_mul_lo_u32 v12, s18, v10
	v_mul_lo_u32 v15, s19, v9
	v_mad_u64_u32 v[9:10], s[0:1], s18, v9, 0
	v_add3_u32 v2, v2, v7, v11
	v_or_b32_e32 v7, 0x80, v19
	v_cmp_gt_i32_e64 s[0:1], s13, v7
	v_or_b32_e32 v7, 0xc0, v19
	v_lshlrev_b64 v[3:4], 1, v[3:4]
	v_cmp_gt_i32_e64 s[2:3], s13, v7
	v_lshlrev_b32_e32 v7, 3, v0
	v_add_co_u32_e32 v30, vcc, v3, v7
	v_lshlrev_b64 v[0:1], 1, v[1:2]
	v_addc_co_u32_e32 v31, vcc, 0, v4, vcc
	v_add3_u32 v6, v6, v13, v14
	v_add_co_u32_e32 v32, vcc, v0, v7
	v_addc_co_u32_e32 v33, vcc, 0, v1, vcc
	v_lshlrev_b64 v[0:1], 1, v[5:6]
	v_add3_u32 v10, v10, v12, v15
	v_add_co_u32_e32 v34, vcc, v0, v7
	v_addc_co_u32_e32 v35, vcc, 0, v1, vcc
	v_lshlrev_b64 v[0:1], 1, v[9:10]
	v_mov_b32_e32 v9, v8
	v_add_co_u32_e32 v36, vcc, v0, v7
	v_addc_co_u32_e32 v37, vcc, 0, v1, vcc
	v_mov_b32_e32 v10, v8
	v_mov_b32_e32 v11, v8
	;; [unrolled: 1-line block ×7, first 2 shown]
	v_cmp_gt_i32_e64 s[4:5], s13, v19
	v_cmp_gt_i32_e64 s[6:7], s13, v25
	s_lshl_b64 s[26:27], s[18:19], 7
	s_mov_b64 s[28:29], 0
	v_mov_b32_e32 v1, v9
	v_mov_b32_e32 v2, v10
	;; [unrolled: 1-line block ×7, first 2 shown]
	s_branch .LBB14_4
.LBB14_2:                               ;   in Loop: Header=BB14_4 Depth=1
	v_mov_b32_e32 v0, v9
	v_mov_b32_e32 v1, v10
	;; [unrolled: 1-line block ×8, first 2 shown]
.LBB14_3:                               ;   in Loop: Header=BB14_4 Depth=1
	s_or_b64 exec, exec, s[10:11]
	v_add_co_u32_e32 v30, vcc, 0x80, v30
	v_addc_co_u32_e32 v31, vcc, 0, v31, vcc
	v_mov_b32_e32 v9, s27
	v_add_co_u32_e32 v18, vcc, s26, v18
	v_addc_co_u32_e32 v20, vcc, v20, v9, vcc
	v_add_co_u32_e32 v32, vcc, 0x80, v32
	v_addc_co_u32_e32 v33, vcc, 0, v33, vcc
	;; [unrolled: 2-line block ×5, first 2 shown]
	v_add_co_u32_e32 v36, vcc, 0x80, v36
	v_add_u32_e32 v17, 64, v17
	v_addc_co_u32_e32 v37, vcc, 0, v37, vcc
	v_cmp_le_i32_e32 vcc, s33, v17
	s_or_b64 s[28:29], vcc, s[28:29]
	v_add_co_u32_e32 v28, vcc, s26, v28
	v_addc_co_u32_e32 v29, vcc, v29, v9, vcc
	s_andn2_b64 exec, exec, s[28:29]
	s_cbranch_execz .LBB14_27
.LBB14_4:                               ; =>This Inner Loop Header: Depth=1
	v_cndmask_b32_e64 v9, 0, 1, s[24:25]
	v_cmp_ne_u32_e64 s[8:9], 1, v9
	s_and_saveexec_b64 s[30:31], s[4:5]
	s_cbranch_execnz .LBB14_8
; %bb.5:                                ;   in Loop: Header=BB14_4 Depth=1
	s_or_b64 exec, exec, s[30:31]
	s_and_saveexec_b64 s[30:31], s[6:7]
	s_cbranch_execnz .LBB14_13
.LBB14_6:                               ;   in Loop: Header=BB14_4 Depth=1
	s_or_b64 exec, exec, s[30:31]
	s_and_saveexec_b64 s[30:31], s[0:1]
	s_cbranch_execnz .LBB14_18
.LBB14_7:                               ;   in Loop: Header=BB14_4 Depth=1
	s_or_b64 exec, exec, s[30:31]
	s_and_saveexec_b64 s[10:11], s[2:3]
	s_cbranch_execz .LBB14_3
	s_branch .LBB14_23
.LBB14_8:                               ;   in Loop: Header=BB14_4 Depth=1
	s_and_b64 vcc, exec, s[8:9]
	s_mov_b64 s[10:11], -1
                                        ; implicit-def: $vgpr9_vgpr10_vgpr11_vgpr12_vgpr13_vgpr14_vgpr15_vgpr16
	s_cbranch_vccnz .LBB14_10
; %bb.9:                                ;   in Loop: Header=BB14_4 Depth=1
	v_add_co_u32_e32 v9, vcc, s16, v30
	v_mov_b32_e32 v10, s17
	v_addc_co_u32_e32 v10, vcc, v10, v31, vcc
	global_load_dwordx2 v[9:10], v[9:10], off
	v_add_co_u32_e64 v11, s[10:11], 1, v0
	v_addc_co_u32_e64 v12, s[10:11], 0, v1, s[10:11]
	v_mov_b32_e32 v14, v5
	v_mov_b32_e32 v15, v6
	;; [unrolled: 1-line block ×3, first 2 shown]
	s_waitcnt vmcnt(0)
	v_cmp_neq_f16_e32 vcc, 0, v9
	v_cndmask_b32_e32 v11, v0, v11, vcc
	v_cndmask_b32_e32 v12, v1, v12, vcc
	v_cmp_neq_f16_sdwa vcc, v9, v8 src0_sel:WORD_1 src1_sel:DWORD
	v_add_co_u32_e64 v9, s[10:11], 1, v11
	v_addc_co_u32_e64 v13, s[10:11], 0, v12, s[10:11]
	v_cndmask_b32_e32 v9, v11, v9, vcc
	v_cndmask_b32_e32 v12, v12, v13, vcc
	v_cmp_neq_f16_e32 vcc, 0, v10
	v_add_co_u32_e64 v11, s[10:11], 1, v9
	v_addc_co_u32_e64 v13, s[10:11], 0, v12, s[10:11]
	v_cndmask_b32_e32 v9, v9, v11, vcc
	v_cndmask_b32_e32 v12, v12, v13, vcc
	v_add_co_u32_e64 v11, s[10:11], 1, v9
	v_cmp_neq_f16_sdwa vcc, v10, v8 src0_sel:WORD_1 src1_sel:DWORD
	v_addc_co_u32_e64 v10, s[10:11], 0, v12, s[10:11]
	v_cndmask_b32_e32 v10, v12, v10, vcc
	v_cndmask_b32_e32 v9, v9, v11, vcc
	v_mov_b32_e32 v11, v2
	v_mov_b32_e32 v12, v3
	;; [unrolled: 1-line block ×3, first 2 shown]
	s_mov_b64 s[10:11], 0
.LBB14_10:                              ;   in Loop: Header=BB14_4 Depth=1
	s_andn2_b64 vcc, exec, s[10:11]
	s_cbranch_vccnz .LBB14_12
; %bb.11:                               ;   in Loop: Header=BB14_4 Depth=1
	v_mov_b32_e32 v10, s17
	v_add_co_u32_e32 v9, vcc, s16, v28
	v_addc_co_u32_e32 v10, vcc, v10, v29, vcc
	global_load_ushort v11, v[9:10], off
	v_mov_b32_e32 v10, s17
	v_add_co_u32_e32 v9, vcc, s16, v26
	v_addc_co_u32_e32 v10, vcc, v10, v27, vcc
	global_load_ushort v12, v[9:10], off
	;; [unrolled: 4-line block ×4, first 2 shown]
	v_add_co_u32_e32 v10, vcc, 1, v0
	v_addc_co_u32_e32 v14, vcc, 0, v1, vcc
	s_waitcnt vmcnt(3)
	v_cmp_neq_f16_e32 vcc, 0, v11
	v_cndmask_b32_e32 v0, v0, v10, vcc
	v_cndmask_b32_e32 v1, v1, v14, vcc
	v_add_co_u32_e32 v10, vcc, 1, v0
	v_addc_co_u32_e32 v11, vcc, 0, v1, vcc
	s_waitcnt vmcnt(2)
	v_cmp_neq_f16_e32 vcc, 0, v12
	v_cndmask_b32_e32 v0, v0, v10, vcc
	v_cndmask_b32_e32 v1, v1, v11, vcc
	;; [unrolled: 6-line block ×4, first 2 shown]
	v_mov_b32_e32 v16, v7
	v_mov_b32_e32 v15, v6
	;; [unrolled: 1-line block ×8, first 2 shown]
.LBB14_12:                              ;   in Loop: Header=BB14_4 Depth=1
	v_mov_b32_e32 v0, v9
	v_mov_b32_e32 v1, v10
	;; [unrolled: 1-line block ×8, first 2 shown]
	s_or_b64 exec, exec, s[30:31]
	s_and_saveexec_b64 s[30:31], s[6:7]
	s_cbranch_execz .LBB14_6
.LBB14_13:                              ;   in Loop: Header=BB14_4 Depth=1
	s_and_b64 vcc, exec, s[8:9]
	s_mov_b64 s[10:11], -1
                                        ; implicit-def: $vgpr9_vgpr10_vgpr11_vgpr12_vgpr13_vgpr14_vgpr15_vgpr16
	s_cbranch_vccnz .LBB14_15
; %bb.14:                               ;   in Loop: Header=BB14_4 Depth=1
	v_add_co_u32_e32 v9, vcc, s16, v32
	v_mov_b32_e32 v10, s17
	v_addc_co_u32_e32 v10, vcc, v10, v33, vcc
	global_load_dwordx2 v[9:10], v[9:10], off
	v_add_co_u32_e64 v11, s[10:11], 1, v2
	v_addc_co_u32_e64 v12, s[10:11], 0, v3, s[10:11]
	v_mov_b32_e32 v14, v5
	v_mov_b32_e32 v15, v6
	v_mov_b32_e32 v16, v7
	s_waitcnt vmcnt(0)
	v_cmp_neq_f16_e32 vcc, 0, v9
	v_cndmask_b32_e32 v11, v2, v11, vcc
	v_cndmask_b32_e32 v12, v3, v12, vcc
	v_cmp_neq_f16_sdwa vcc, v9, v8 src0_sel:WORD_1 src1_sel:DWORD
	v_add_co_u32_e64 v9, s[10:11], 1, v11
	v_addc_co_u32_e64 v13, s[10:11], 0, v12, s[10:11]
	v_cndmask_b32_e32 v9, v11, v9, vcc
	v_cndmask_b32_e32 v12, v12, v13, vcc
	v_cmp_neq_f16_e32 vcc, 0, v10
	v_add_co_u32_e64 v11, s[10:11], 1, v9
	v_addc_co_u32_e64 v13, s[10:11], 0, v12, s[10:11]
	v_cndmask_b32_e32 v9, v9, v11, vcc
	v_cndmask_b32_e32 v12, v12, v13, vcc
	v_cmp_neq_f16_sdwa vcc, v10, v8 src0_sel:WORD_1 src1_sel:DWORD
	v_add_co_u32_e64 v10, s[10:11], 1, v9
	v_addc_co_u32_e64 v11, s[10:11], 0, v12, s[10:11]
	v_cndmask_b32_e32 v12, v12, v11, vcc
	v_cndmask_b32_e32 v11, v9, v10, vcc
	v_mov_b32_e32 v9, v0
	v_mov_b32_e32 v10, v1
	v_mov_b32_e32 v13, v4
	s_mov_b64 s[10:11], 0
.LBB14_15:                              ;   in Loop: Header=BB14_4 Depth=1
	s_andn2_b64 vcc, exec, s[10:11]
	s_cbranch_vccnz .LBB14_17
; %bb.16:                               ;   in Loop: Header=BB14_4 Depth=1
	v_mov_b32_e32 v10, s17
	v_add_co_u32_e32 v9, vcc, s16, v28
	v_addc_co_u32_e32 v10, vcc, v10, v29, vcc
	global_load_ushort v11, v[9:10], off offset:128
	v_mov_b32_e32 v10, s17
	v_add_co_u32_e32 v9, vcc, s16, v26
	v_addc_co_u32_e32 v10, vcc, v10, v27, vcc
	global_load_ushort v12, v[9:10], off offset:128
	;; [unrolled: 4-line block ×4, first 2 shown]
	v_add_co_u32_e32 v10, vcc, 1, v2
	v_addc_co_u32_e32 v14, vcc, 0, v3, vcc
	s_waitcnt vmcnt(3)
	v_cmp_neq_f16_e32 vcc, 0, v11
	v_cndmask_b32_e32 v2, v2, v10, vcc
	v_cndmask_b32_e32 v3, v3, v14, vcc
	v_add_co_u32_e32 v10, vcc, 1, v2
	v_addc_co_u32_e32 v11, vcc, 0, v3, vcc
	s_waitcnt vmcnt(2)
	v_cmp_neq_f16_e32 vcc, 0, v12
	v_cndmask_b32_e32 v2, v2, v10, vcc
	v_cndmask_b32_e32 v3, v3, v11, vcc
	;; [unrolled: 6-line block ×4, first 2 shown]
	v_mov_b32_e32 v16, v7
	v_mov_b32_e32 v15, v6
	;; [unrolled: 1-line block ×8, first 2 shown]
.LBB14_17:                              ;   in Loop: Header=BB14_4 Depth=1
	v_mov_b32_e32 v0, v9
	v_mov_b32_e32 v1, v10
	;; [unrolled: 1-line block ×8, first 2 shown]
	s_or_b64 exec, exec, s[30:31]
	s_and_saveexec_b64 s[30:31], s[0:1]
	s_cbranch_execz .LBB14_7
.LBB14_18:                              ;   in Loop: Header=BB14_4 Depth=1
	s_and_b64 vcc, exec, s[8:9]
	s_mov_b64 s[10:11], -1
                                        ; implicit-def: $vgpr9_vgpr10_vgpr11_vgpr12_vgpr13_vgpr14_vgpr15_vgpr16
	s_cbranch_vccnz .LBB14_20
; %bb.19:                               ;   in Loop: Header=BB14_4 Depth=1
	v_add_co_u32_e32 v9, vcc, s16, v34
	v_mov_b32_e32 v10, s17
	v_addc_co_u32_e32 v10, vcc, v10, v35, vcc
	global_load_dwordx2 v[9:10], v[9:10], off
	v_add_co_u32_e64 v11, s[10:11], 1, v4
	v_addc_co_u32_e64 v12, s[10:11], 0, v5, s[10:11]
	v_mov_b32_e32 v15, v6
	v_mov_b32_e32 v16, v7
	s_waitcnt vmcnt(0)
	v_cmp_neq_f16_e32 vcc, 0, v9
	v_cndmask_b32_e32 v11, v4, v11, vcc
	v_cndmask_b32_e32 v12, v5, v12, vcc
	v_cmp_neq_f16_sdwa vcc, v9, v8 src0_sel:WORD_1 src1_sel:DWORD
	v_add_co_u32_e64 v9, s[10:11], 1, v11
	v_addc_co_u32_e64 v13, s[10:11], 0, v12, s[10:11]
	v_cndmask_b32_e32 v9, v11, v9, vcc
	v_cndmask_b32_e32 v12, v12, v13, vcc
	v_cmp_neq_f16_e32 vcc, 0, v10
	v_add_co_u32_e64 v11, s[10:11], 1, v9
	v_addc_co_u32_e64 v13, s[10:11], 0, v12, s[10:11]
	v_cndmask_b32_e32 v9, v9, v11, vcc
	v_cndmask_b32_e32 v12, v12, v13, vcc
	v_cmp_neq_f16_sdwa vcc, v10, v8 src0_sel:WORD_1 src1_sel:DWORD
	v_add_co_u32_e64 v10, s[10:11], 1, v9
	v_addc_co_u32_e64 v11, s[10:11], 0, v12, s[10:11]
	v_cndmask_b32_e32 v14, v12, v11, vcc
	v_cndmask_b32_e32 v13, v9, v10, vcc
	v_mov_b32_e32 v9, v0
	v_mov_b32_e32 v10, v1
	;; [unrolled: 1-line block ×4, first 2 shown]
	s_mov_b64 s[10:11], 0
.LBB14_20:                              ;   in Loop: Header=BB14_4 Depth=1
	s_andn2_b64 vcc, exec, s[10:11]
	s_cbranch_vccnz .LBB14_22
; %bb.21:                               ;   in Loop: Header=BB14_4 Depth=1
	v_mov_b32_e32 v10, s17
	v_add_co_u32_e32 v9, vcc, s16, v28
	v_addc_co_u32_e32 v10, vcc, v10, v29, vcc
	global_load_ushort v11, v[9:10], off offset:256
	v_mov_b32_e32 v10, s17
	v_add_co_u32_e32 v9, vcc, s16, v26
	v_addc_co_u32_e32 v10, vcc, v10, v27, vcc
	global_load_ushort v12, v[9:10], off offset:256
	;; [unrolled: 4-line block ×4, first 2 shown]
	v_add_co_u32_e32 v10, vcc, 1, v4
	v_addc_co_u32_e32 v14, vcc, 0, v5, vcc
	s_waitcnt vmcnt(3)
	v_cmp_neq_f16_e32 vcc, 0, v11
	v_cndmask_b32_e32 v4, v4, v10, vcc
	v_cndmask_b32_e32 v5, v5, v14, vcc
	v_add_co_u32_e32 v10, vcc, 1, v4
	v_addc_co_u32_e32 v11, vcc, 0, v5, vcc
	s_waitcnt vmcnt(2)
	v_cmp_neq_f16_e32 vcc, 0, v12
	v_cndmask_b32_e32 v4, v4, v10, vcc
	v_cndmask_b32_e32 v5, v5, v11, vcc
	;; [unrolled: 6-line block ×4, first 2 shown]
	v_mov_b32_e32 v16, v7
	v_mov_b32_e32 v15, v6
	;; [unrolled: 1-line block ×8, first 2 shown]
.LBB14_22:                              ;   in Loop: Header=BB14_4 Depth=1
	v_mov_b32_e32 v0, v9
	v_mov_b32_e32 v1, v10
	;; [unrolled: 1-line block ×8, first 2 shown]
	s_or_b64 exec, exec, s[30:31]
	s_and_saveexec_b64 s[10:11], s[2:3]
	s_cbranch_execz .LBB14_3
.LBB14_23:                              ;   in Loop: Header=BB14_4 Depth=1
	s_and_b64 vcc, exec, s[8:9]
	s_mov_b64 s[8:9], -1
                                        ; implicit-def: $vgpr9_vgpr10_vgpr11_vgpr12_vgpr13_vgpr14_vgpr15_vgpr16
	s_cbranch_vccnz .LBB14_25
; %bb.24:                               ;   in Loop: Header=BB14_4 Depth=1
	v_add_co_u32_e32 v9, vcc, s16, v36
	v_mov_b32_e32 v10, s17
	v_addc_co_u32_e32 v10, vcc, v10, v37, vcc
	global_load_dwordx2 v[9:10], v[9:10], off
	v_add_co_u32_e64 v11, s[8:9], 1, v6
	v_addc_co_u32_e64 v12, s[8:9], 0, v7, s[8:9]
	v_mov_b32_e32 v14, v5
	s_waitcnt vmcnt(0)
	v_cmp_neq_f16_e32 vcc, 0, v9
	v_cndmask_b32_e32 v11, v6, v11, vcc
	v_cndmask_b32_e32 v12, v7, v12, vcc
	v_cmp_neq_f16_sdwa vcc, v9, v8 src0_sel:WORD_1 src1_sel:DWORD
	v_add_co_u32_e64 v9, s[8:9], 1, v11
	v_addc_co_u32_e64 v13, s[8:9], 0, v12, s[8:9]
	v_cndmask_b32_e32 v9, v11, v9, vcc
	v_cndmask_b32_e32 v12, v12, v13, vcc
	v_cmp_neq_f16_e32 vcc, 0, v10
	v_add_co_u32_e64 v11, s[8:9], 1, v9
	v_addc_co_u32_e64 v13, s[8:9], 0, v12, s[8:9]
	v_cndmask_b32_e32 v9, v9, v11, vcc
	v_cndmask_b32_e32 v12, v12, v13, vcc
	v_cmp_neq_f16_sdwa vcc, v10, v8 src0_sel:WORD_1 src1_sel:DWORD
	v_add_co_u32_e64 v10, s[8:9], 1, v9
	v_addc_co_u32_e64 v11, s[8:9], 0, v12, s[8:9]
	v_cndmask_b32_e32 v16, v12, v11, vcc
	v_cndmask_b32_e32 v15, v9, v10, vcc
	v_mov_b32_e32 v9, v0
	v_mov_b32_e32 v10, v1
	;; [unrolled: 1-line block ×5, first 2 shown]
	s_mov_b64 s[8:9], 0
.LBB14_25:                              ;   in Loop: Header=BB14_4 Depth=1
	s_andn2_b64 vcc, exec, s[8:9]
	s_cbranch_vccnz .LBB14_2
; %bb.26:                               ;   in Loop: Header=BB14_4 Depth=1
	v_mov_b32_e32 v10, s17
	v_add_co_u32_e32 v9, vcc, s16, v28
	v_addc_co_u32_e32 v10, vcc, v10, v29, vcc
	global_load_ushort v11, v[9:10], off offset:384
	v_mov_b32_e32 v10, s17
	v_add_co_u32_e32 v9, vcc, s16, v26
	v_addc_co_u32_e32 v10, vcc, v10, v27, vcc
	global_load_ushort v12, v[9:10], off offset:384
	;; [unrolled: 4-line block ×4, first 2 shown]
	v_add_co_u32_e32 v10, vcc, 1, v6
	v_addc_co_u32_e32 v14, vcc, 0, v7, vcc
	s_waitcnt vmcnt(3)
	v_cmp_neq_f16_e32 vcc, 0, v11
	v_cndmask_b32_e32 v6, v6, v10, vcc
	v_cndmask_b32_e32 v7, v7, v14, vcc
	v_add_co_u32_e32 v10, vcc, 1, v6
	v_addc_co_u32_e32 v11, vcc, 0, v7, vcc
	s_waitcnt vmcnt(2)
	v_cmp_neq_f16_e32 vcc, 0, v12
	v_cndmask_b32_e32 v6, v6, v10, vcc
	v_cndmask_b32_e32 v7, v7, v11, vcc
	;; [unrolled: 6-line block ×4, first 2 shown]
	v_mov_b32_e32 v16, v7
	v_mov_b32_e32 v15, v6
	;; [unrolled: 1-line block ×8, first 2 shown]
	s_branch .LBB14_2
.LBB14_27:
	s_or_b64 exec, exec, s[28:29]
.LBB14_28:
	s_or_b64 exec, exec, s[22:23]
	s_sub_i32 s0, s14, s33
	s_cmp_lt_i32 s0, 1
	s_cbranch_scc1 .LBB14_134
; %bb.29:
	v_mov_b32_e32 v18, 0
	v_lshlrev_b64 v[8:9], 1, v[17:18]
	v_mov_b32_e32 v10, s17
	v_add_co_u32_e32 v16, vcc, s16, v8
	s_cmp_lg_u32 s12, 1
	v_addc_co_u32_e32 v18, vcc, v10, v9, vcc
	s_cselect_b64 s[0:1], -1, 0
	v_cmp_gt_i32_e32 vcc, s13, v19
	v_ashrrev_i32_e32 v20, 31, v19
	s_and_saveexec_b64 s[2:3], vcc
	s_cbranch_execz .LBB14_55
; %bb.30:
	v_mul_lo_u32 v10, s19, v19
	v_mul_lo_u32 v11, s18, v20
	v_mad_u64_u32 v[8:9], s[4:5], s18, v19, 0
	v_add3_u32 v9, v9, v11, v10
	v_lshlrev_b64 v[8:9], 1, v[8:9]
	v_mov_b32_e32 v10, s17
	v_add_co_u32_e32 v21, vcc, v16, v8
	v_addc_co_u32_e32 v22, vcc, v18, v9, vcc
	v_lshlrev_b64 v[8:9], 1, v[19:20]
	v_add_co_u32_e32 v26, vcc, s16, v8
	v_addc_co_u32_e32 v27, vcc, v10, v9, vcc
	v_cmp_gt_i32_e32 vcc, s14, v17
	s_and_saveexec_b64 s[4:5], vcc
	s_cbranch_execz .LBB14_36
; %bb.31:
	s_and_b64 vcc, exec, s[0:1]
	s_cbranch_vccz .LBB14_33
; %bb.32:
	global_load_ushort v28, v[21:22], off
	v_mov_b32_e32 v15, v7
	v_mov_b32_e32 v8, v0
	v_mov_b32_e32 v9, v1
	v_mov_b32_e32 v14, v6
	v_mov_b32_e32 v13, v5
	v_mov_b32_e32 v12, v4
	v_mov_b32_e32 v11, v3
	v_mov_b32_e32 v10, v2
	s_waitcnt vmcnt(0)
	v_cmp_neq_f16_e32 vcc, 0, v28
	v_cndmask_b32_e64 v8, 0, 1, vcc
	v_add_co_u32_e32 v8, vcc, v0, v8
	v_addc_co_u32_e32 v9, vcc, 0, v1, vcc
	s_cbranch_execz .LBB14_34
	s_branch .LBB14_35
.LBB14_33:
                                        ; implicit-def: $vgpr8_vgpr9_vgpr10_vgpr11_vgpr12_vgpr13_vgpr14_vgpr15
.LBB14_34:
	v_mad_u64_u32 v[8:9], s[6:7], s18, v17, 0
	v_mad_u64_u32 v[9:10], s[6:7], s19, v17, v[9:10]
	v_lshlrev_b64 v[8:9], 1, v[8:9]
	v_add_co_u32_e32 v8, vcc, v26, v8
	v_addc_co_u32_e32 v9, vcc, v27, v9, vcc
	global_load_ushort v8, v[8:9], off
	s_waitcnt vmcnt(0)
	v_cmp_neq_f16_e32 vcc, 0, v8
	v_cndmask_b32_e64 v8, 0, 1, vcc
	v_add_co_u32_e32 v0, vcc, v0, v8
	v_addc_co_u32_e32 v1, vcc, 0, v1, vcc
	v_mov_b32_e32 v15, v7
	v_mov_b32_e32 v14, v6
	;; [unrolled: 1-line block ×8, first 2 shown]
.LBB14_35:
	v_mov_b32_e32 v0, v8
	v_mov_b32_e32 v1, v9
	;; [unrolled: 1-line block ×8, first 2 shown]
.LBB14_36:
	s_or_b64 exec, exec, s[4:5]
	v_or_b32_e32 v28, 1, v17
	v_cmp_gt_i32_e32 vcc, s14, v28
	s_and_saveexec_b64 s[4:5], vcc
	s_cbranch_execz .LBB14_42
; %bb.37:
	s_andn2_b64 vcc, exec, s[0:1]
	s_cbranch_vccnz .LBB14_39
; %bb.38:
	global_load_ushort v29, v[21:22], off offset:2
	v_mov_b32_e32 v15, v7
	v_mov_b32_e32 v8, v0
	v_mov_b32_e32 v9, v1
	v_mov_b32_e32 v14, v6
	v_mov_b32_e32 v13, v5
	v_mov_b32_e32 v12, v4
	v_mov_b32_e32 v11, v3
	v_mov_b32_e32 v10, v2
	s_waitcnt vmcnt(0)
	v_cmp_neq_f16_e32 vcc, 0, v29
	v_cndmask_b32_e64 v8, 0, 1, vcc
	v_add_co_u32_e32 v8, vcc, v0, v8
	v_addc_co_u32_e32 v9, vcc, 0, v1, vcc
	s_cbranch_execz .LBB14_40
	s_branch .LBB14_41
.LBB14_39:
                                        ; implicit-def: $vgpr8_vgpr9_vgpr10_vgpr11_vgpr12_vgpr13_vgpr14_vgpr15
.LBB14_40:
	v_mad_u64_u32 v[8:9], s[6:7], s18, v28, 0
	v_mad_u64_u32 v[9:10], s[6:7], s19, v28, v[9:10]
	v_lshlrev_b64 v[8:9], 1, v[8:9]
	v_add_co_u32_e32 v8, vcc, v26, v8
	v_addc_co_u32_e32 v9, vcc, v27, v9, vcc
	global_load_ushort v8, v[8:9], off
	s_waitcnt vmcnt(0)
	v_cmp_neq_f16_e32 vcc, 0, v8
	v_cndmask_b32_e64 v8, 0, 1, vcc
	v_add_co_u32_e32 v0, vcc, v0, v8
	v_addc_co_u32_e32 v1, vcc, 0, v1, vcc
	v_mov_b32_e32 v15, v7
	v_mov_b32_e32 v14, v6
	v_mov_b32_e32 v13, v5
	v_mov_b32_e32 v12, v4
	v_mov_b32_e32 v11, v3
	v_mov_b32_e32 v10, v2
	v_mov_b32_e32 v9, v1
	v_mov_b32_e32 v8, v0
.LBB14_41:
	v_mov_b32_e32 v0, v8
	v_mov_b32_e32 v1, v9
	v_mov_b32_e32 v2, v10
	v_mov_b32_e32 v3, v11
	v_mov_b32_e32 v4, v12
	v_mov_b32_e32 v5, v13
	v_mov_b32_e32 v6, v14
	v_mov_b32_e32 v7, v15
.LBB14_42:
	s_or_b64 exec, exec, s[4:5]
	v_or_b32_e32 v28, 2, v17
	v_cmp_gt_i32_e32 vcc, s14, v28
	s_and_saveexec_b64 s[4:5], vcc
	s_cbranch_execz .LBB14_48
; %bb.43:
	s_andn2_b64 vcc, exec, s[0:1]
	s_cbranch_vccnz .LBB14_45
; %bb.44:
	global_load_ushort v29, v[21:22], off offset:4
	v_mov_b32_e32 v15, v7
	v_mov_b32_e32 v8, v0
	v_mov_b32_e32 v9, v1
	v_mov_b32_e32 v14, v6
	v_mov_b32_e32 v13, v5
	v_mov_b32_e32 v12, v4
	v_mov_b32_e32 v11, v3
	v_mov_b32_e32 v10, v2
	s_waitcnt vmcnt(0)
	v_cmp_neq_f16_e32 vcc, 0, v29
	v_cndmask_b32_e64 v8, 0, 1, vcc
	v_add_co_u32_e32 v8, vcc, v0, v8
	v_addc_co_u32_e32 v9, vcc, 0, v1, vcc
	s_cbranch_execz .LBB14_46
	s_branch .LBB14_47
.LBB14_45:
                                        ; implicit-def: $vgpr8_vgpr9_vgpr10_vgpr11_vgpr12_vgpr13_vgpr14_vgpr15
.LBB14_46:
	v_mad_u64_u32 v[8:9], s[6:7], s18, v28, 0
	v_mad_u64_u32 v[9:10], s[6:7], s19, v28, v[9:10]
	v_lshlrev_b64 v[8:9], 1, v[8:9]
	v_add_co_u32_e32 v8, vcc, v26, v8
	v_addc_co_u32_e32 v9, vcc, v27, v9, vcc
	global_load_ushort v8, v[8:9], off
	s_waitcnt vmcnt(0)
	v_cmp_neq_f16_e32 vcc, 0, v8
	v_cndmask_b32_e64 v8, 0, 1, vcc
	v_add_co_u32_e32 v0, vcc, v0, v8
	v_addc_co_u32_e32 v1, vcc, 0, v1, vcc
	v_mov_b32_e32 v15, v7
	v_mov_b32_e32 v14, v6
	v_mov_b32_e32 v13, v5
	v_mov_b32_e32 v12, v4
	v_mov_b32_e32 v11, v3
	v_mov_b32_e32 v10, v2
	v_mov_b32_e32 v9, v1
	v_mov_b32_e32 v8, v0
.LBB14_47:
	v_mov_b32_e32 v0, v8
	v_mov_b32_e32 v1, v9
	v_mov_b32_e32 v2, v10
	v_mov_b32_e32 v3, v11
	v_mov_b32_e32 v4, v12
	v_mov_b32_e32 v5, v13
	v_mov_b32_e32 v6, v14
	v_mov_b32_e32 v7, v15
.LBB14_48:
	;; [unrolled: 57-line block ×3, first 2 shown]
	s_or_b64 exec, exec, s[4:5]
.LBB14_55:
	s_or_b64 exec, exec, s[2:3]
	v_cmp_gt_i32_e32 vcc, s13, v25
	s_and_saveexec_b64 s[2:3], vcc
	s_cbranch_execz .LBB14_81
; %bb.56:
	v_ashrrev_i32_e32 v10, 31, v25
	v_mul_lo_u32 v11, s19, v25
	v_mad_u64_u32 v[8:9], s[4:5], s18, v25, 0
	v_mul_lo_u32 v10, s18, v10
	v_add3_u32 v9, v9, v10, v11
	v_lshlrev_b64 v[8:9], 1, v[8:9]
	v_mov_b32_e32 v10, s17
	v_add_co_u32_e32 v21, vcc, v16, v8
	v_addc_co_u32_e32 v22, vcc, v18, v9, vcc
	v_lshlrev_b64 v[8:9], 1, v[19:20]
	v_add_co_u32_e32 v25, vcc, s16, v8
	v_addc_co_u32_e32 v26, vcc, v10, v9, vcc
	v_cmp_gt_i32_e32 vcc, s14, v17
	s_and_saveexec_b64 s[4:5], vcc
	s_cbranch_execz .LBB14_62
; %bb.57:
	s_andn2_b64 vcc, exec, s[0:1]
	s_cbranch_vccnz .LBB14_59
; %bb.58:
	global_load_ushort v27, v[21:22], off
	v_mov_b32_e32 v15, v7
	v_mov_b32_e32 v10, v2
	;; [unrolled: 1-line block ×8, first 2 shown]
	s_waitcnt vmcnt(0)
	v_cmp_neq_f16_e32 vcc, 0, v27
	v_cndmask_b32_e64 v10, 0, 1, vcc
	v_add_co_u32_e32 v10, vcc, v2, v10
	v_addc_co_u32_e32 v11, vcc, 0, v3, vcc
	s_cbranch_execz .LBB14_60
	s_branch .LBB14_61
.LBB14_59:
                                        ; implicit-def: $vgpr8_vgpr9_vgpr10_vgpr11_vgpr12_vgpr13_vgpr14_vgpr15
.LBB14_60:
	v_mad_u64_u32 v[8:9], s[6:7], s18, v17, 0
	v_mad_u64_u32 v[9:10], s[6:7], s19, v17, v[9:10]
	v_lshlrev_b64 v[8:9], 1, v[8:9]
	v_add_co_u32_e32 v8, vcc, v25, v8
	v_addc_co_u32_e32 v9, vcc, v26, v9, vcc
	global_load_ushort v8, v[8:9], off offset:128
	s_waitcnt vmcnt(0)
	v_cmp_neq_f16_e32 vcc, 0, v8
	v_cndmask_b32_e64 v8, 0, 1, vcc
	v_add_co_u32_e32 v2, vcc, v2, v8
	v_addc_co_u32_e32 v3, vcc, 0, v3, vcc
	v_mov_b32_e32 v15, v7
	v_mov_b32_e32 v14, v6
	v_mov_b32_e32 v13, v5
	v_mov_b32_e32 v12, v4
	v_mov_b32_e32 v11, v3
	v_mov_b32_e32 v10, v2
	v_mov_b32_e32 v9, v1
	v_mov_b32_e32 v8, v0
.LBB14_61:
	v_mov_b32_e32 v0, v8
	v_mov_b32_e32 v1, v9
	;; [unrolled: 1-line block ×8, first 2 shown]
.LBB14_62:
	s_or_b64 exec, exec, s[4:5]
	v_or_b32_e32 v27, 1, v17
	v_cmp_gt_i32_e32 vcc, s14, v27
	s_and_saveexec_b64 s[4:5], vcc
	s_cbranch_execz .LBB14_68
; %bb.63:
	s_andn2_b64 vcc, exec, s[0:1]
	s_cbranch_vccnz .LBB14_65
; %bb.64:
	global_load_ushort v28, v[21:22], off offset:2
	v_mov_b32_e32 v15, v7
	v_mov_b32_e32 v10, v2
	v_mov_b32_e32 v11, v3
	v_mov_b32_e32 v14, v6
	v_mov_b32_e32 v13, v5
	v_mov_b32_e32 v12, v4
	v_mov_b32_e32 v9, v1
	v_mov_b32_e32 v8, v0
	s_waitcnt vmcnt(0)
	v_cmp_neq_f16_e32 vcc, 0, v28
	v_cndmask_b32_e64 v10, 0, 1, vcc
	v_add_co_u32_e32 v10, vcc, v2, v10
	v_addc_co_u32_e32 v11, vcc, 0, v3, vcc
	s_cbranch_execz .LBB14_66
	s_branch .LBB14_67
.LBB14_65:
                                        ; implicit-def: $vgpr8_vgpr9_vgpr10_vgpr11_vgpr12_vgpr13_vgpr14_vgpr15
.LBB14_66:
	v_mad_u64_u32 v[8:9], s[6:7], s18, v27, 0
	v_mad_u64_u32 v[9:10], s[6:7], s19, v27, v[9:10]
	v_lshlrev_b64 v[8:9], 1, v[8:9]
	v_add_co_u32_e32 v8, vcc, v25, v8
	v_addc_co_u32_e32 v9, vcc, v26, v9, vcc
	global_load_ushort v8, v[8:9], off offset:128
	s_waitcnt vmcnt(0)
	v_cmp_neq_f16_e32 vcc, 0, v8
	v_cndmask_b32_e64 v8, 0, 1, vcc
	v_add_co_u32_e32 v2, vcc, v2, v8
	v_addc_co_u32_e32 v3, vcc, 0, v3, vcc
	v_mov_b32_e32 v15, v7
	v_mov_b32_e32 v14, v6
	v_mov_b32_e32 v13, v5
	v_mov_b32_e32 v12, v4
	v_mov_b32_e32 v11, v3
	v_mov_b32_e32 v10, v2
	v_mov_b32_e32 v9, v1
	v_mov_b32_e32 v8, v0
.LBB14_67:
	v_mov_b32_e32 v0, v8
	v_mov_b32_e32 v1, v9
	v_mov_b32_e32 v2, v10
	v_mov_b32_e32 v3, v11
	v_mov_b32_e32 v4, v12
	v_mov_b32_e32 v5, v13
	v_mov_b32_e32 v6, v14
	v_mov_b32_e32 v7, v15
.LBB14_68:
	s_or_b64 exec, exec, s[4:5]
	v_or_b32_e32 v27, 2, v17
	v_cmp_gt_i32_e32 vcc, s14, v27
	s_and_saveexec_b64 s[4:5], vcc
	s_cbranch_execz .LBB14_74
; %bb.69:
	s_andn2_b64 vcc, exec, s[0:1]
	s_cbranch_vccnz .LBB14_71
; %bb.70:
	global_load_ushort v28, v[21:22], off offset:4
	v_mov_b32_e32 v15, v7
	v_mov_b32_e32 v10, v2
	v_mov_b32_e32 v11, v3
	v_mov_b32_e32 v14, v6
	v_mov_b32_e32 v13, v5
	v_mov_b32_e32 v12, v4
	v_mov_b32_e32 v9, v1
	v_mov_b32_e32 v8, v0
	s_waitcnt vmcnt(0)
	v_cmp_neq_f16_e32 vcc, 0, v28
	v_cndmask_b32_e64 v10, 0, 1, vcc
	v_add_co_u32_e32 v10, vcc, v2, v10
	v_addc_co_u32_e32 v11, vcc, 0, v3, vcc
	s_cbranch_execz .LBB14_72
	s_branch .LBB14_73
.LBB14_71:
                                        ; implicit-def: $vgpr8_vgpr9_vgpr10_vgpr11_vgpr12_vgpr13_vgpr14_vgpr15
.LBB14_72:
	v_mad_u64_u32 v[8:9], s[6:7], s18, v27, 0
	v_mad_u64_u32 v[9:10], s[6:7], s19, v27, v[9:10]
	v_lshlrev_b64 v[8:9], 1, v[8:9]
	v_add_co_u32_e32 v8, vcc, v25, v8
	v_addc_co_u32_e32 v9, vcc, v26, v9, vcc
	global_load_ushort v8, v[8:9], off offset:128
	s_waitcnt vmcnt(0)
	v_cmp_neq_f16_e32 vcc, 0, v8
	v_cndmask_b32_e64 v8, 0, 1, vcc
	v_add_co_u32_e32 v2, vcc, v2, v8
	v_addc_co_u32_e32 v3, vcc, 0, v3, vcc
	v_mov_b32_e32 v15, v7
	v_mov_b32_e32 v14, v6
	v_mov_b32_e32 v13, v5
	v_mov_b32_e32 v12, v4
	v_mov_b32_e32 v11, v3
	v_mov_b32_e32 v10, v2
	v_mov_b32_e32 v9, v1
	v_mov_b32_e32 v8, v0
.LBB14_73:
	v_mov_b32_e32 v0, v8
	v_mov_b32_e32 v1, v9
	v_mov_b32_e32 v2, v10
	v_mov_b32_e32 v3, v11
	v_mov_b32_e32 v4, v12
	v_mov_b32_e32 v5, v13
	v_mov_b32_e32 v6, v14
	v_mov_b32_e32 v7, v15
.LBB14_74:
	;; [unrolled: 57-line block ×3, first 2 shown]
	s_or_b64 exec, exec, s[4:5]
.LBB14_81:
	s_or_b64 exec, exec, s[2:3]
	v_or_b32_e32 v8, 0x80, v19
	v_cmp_gt_i32_e32 vcc, s13, v8
	s_and_saveexec_b64 s[2:3], vcc
	s_cbranch_execz .LBB14_107
; %bb.82:
	v_ashrrev_i32_e32 v10, 31, v8
	v_mul_lo_u32 v11, s19, v8
	v_mad_u64_u32 v[8:9], s[4:5], s18, v8, 0
	v_mul_lo_u32 v10, s18, v10
	v_add3_u32 v9, v9, v10, v11
	v_lshlrev_b64 v[8:9], 1, v[8:9]
	v_mov_b32_e32 v10, s17
	v_add_co_u32_e32 v21, vcc, v16, v8
	v_addc_co_u32_e32 v22, vcc, v18, v9, vcc
	v_lshlrev_b64 v[8:9], 1, v[19:20]
	v_add_co_u32_e32 v25, vcc, s16, v8
	v_addc_co_u32_e32 v26, vcc, v10, v9, vcc
	v_cmp_gt_i32_e32 vcc, s14, v17
	s_and_saveexec_b64 s[4:5], vcc
	s_cbranch_execz .LBB14_88
; %bb.83:
	s_andn2_b64 vcc, exec, s[0:1]
	s_cbranch_vccnz .LBB14_85
; %bb.84:
	global_load_ushort v27, v[21:22], off
	v_mov_b32_e32 v15, v7
	v_mov_b32_e32 v12, v4
	;; [unrolled: 1-line block ×8, first 2 shown]
	s_waitcnt vmcnt(0)
	v_cmp_neq_f16_e32 vcc, 0, v27
	v_cndmask_b32_e64 v12, 0, 1, vcc
	v_add_co_u32_e32 v12, vcc, v4, v12
	v_addc_co_u32_e32 v13, vcc, 0, v5, vcc
	s_cbranch_execz .LBB14_86
	s_branch .LBB14_87
.LBB14_85:
                                        ; implicit-def: $vgpr8_vgpr9_vgpr10_vgpr11_vgpr12_vgpr13_vgpr14_vgpr15
.LBB14_86:
	v_mad_u64_u32 v[8:9], s[6:7], s18, v17, 0
	v_mad_u64_u32 v[9:10], s[6:7], s19, v17, v[9:10]
	v_lshlrev_b64 v[8:9], 1, v[8:9]
	v_add_co_u32_e32 v8, vcc, v25, v8
	v_addc_co_u32_e32 v9, vcc, v26, v9, vcc
	global_load_ushort v8, v[8:9], off offset:256
	s_waitcnt vmcnt(0)
	v_cmp_neq_f16_e32 vcc, 0, v8
	v_cndmask_b32_e64 v8, 0, 1, vcc
	v_add_co_u32_e32 v4, vcc, v4, v8
	v_addc_co_u32_e32 v5, vcc, 0, v5, vcc
	v_mov_b32_e32 v15, v7
	v_mov_b32_e32 v14, v6
	;; [unrolled: 1-line block ×8, first 2 shown]
.LBB14_87:
	v_mov_b32_e32 v0, v8
	v_mov_b32_e32 v1, v9
	;; [unrolled: 1-line block ×8, first 2 shown]
.LBB14_88:
	s_or_b64 exec, exec, s[4:5]
	v_or_b32_e32 v27, 1, v17
	v_cmp_gt_i32_e32 vcc, s14, v27
	s_and_saveexec_b64 s[4:5], vcc
	s_cbranch_execz .LBB14_94
; %bb.89:
	s_andn2_b64 vcc, exec, s[0:1]
	s_cbranch_vccnz .LBB14_91
; %bb.90:
	global_load_ushort v28, v[21:22], off offset:2
	v_mov_b32_e32 v15, v7
	v_mov_b32_e32 v12, v4
	v_mov_b32_e32 v13, v5
	v_mov_b32_e32 v14, v6
	v_mov_b32_e32 v11, v3
	v_mov_b32_e32 v10, v2
	v_mov_b32_e32 v9, v1
	v_mov_b32_e32 v8, v0
	s_waitcnt vmcnt(0)
	v_cmp_neq_f16_e32 vcc, 0, v28
	v_cndmask_b32_e64 v12, 0, 1, vcc
	v_add_co_u32_e32 v12, vcc, v4, v12
	v_addc_co_u32_e32 v13, vcc, 0, v5, vcc
	s_cbranch_execz .LBB14_92
	s_branch .LBB14_93
.LBB14_91:
                                        ; implicit-def: $vgpr8_vgpr9_vgpr10_vgpr11_vgpr12_vgpr13_vgpr14_vgpr15
.LBB14_92:
	v_mad_u64_u32 v[8:9], s[6:7], s18, v27, 0
	v_mad_u64_u32 v[9:10], s[6:7], s19, v27, v[9:10]
	v_lshlrev_b64 v[8:9], 1, v[8:9]
	v_add_co_u32_e32 v8, vcc, v25, v8
	v_addc_co_u32_e32 v9, vcc, v26, v9, vcc
	global_load_ushort v8, v[8:9], off offset:256
	s_waitcnt vmcnt(0)
	v_cmp_neq_f16_e32 vcc, 0, v8
	v_cndmask_b32_e64 v8, 0, 1, vcc
	v_add_co_u32_e32 v4, vcc, v4, v8
	v_addc_co_u32_e32 v5, vcc, 0, v5, vcc
	v_mov_b32_e32 v15, v7
	v_mov_b32_e32 v14, v6
	v_mov_b32_e32 v13, v5
	v_mov_b32_e32 v12, v4
	v_mov_b32_e32 v11, v3
	v_mov_b32_e32 v10, v2
	v_mov_b32_e32 v9, v1
	v_mov_b32_e32 v8, v0
.LBB14_93:
	v_mov_b32_e32 v0, v8
	v_mov_b32_e32 v1, v9
	v_mov_b32_e32 v2, v10
	v_mov_b32_e32 v3, v11
	v_mov_b32_e32 v4, v12
	v_mov_b32_e32 v5, v13
	v_mov_b32_e32 v6, v14
	v_mov_b32_e32 v7, v15
.LBB14_94:
	s_or_b64 exec, exec, s[4:5]
	v_or_b32_e32 v27, 2, v17
	v_cmp_gt_i32_e32 vcc, s14, v27
	s_and_saveexec_b64 s[4:5], vcc
	s_cbranch_execz .LBB14_100
; %bb.95:
	s_andn2_b64 vcc, exec, s[0:1]
	s_cbranch_vccnz .LBB14_97
; %bb.96:
	global_load_ushort v28, v[21:22], off offset:4
	v_mov_b32_e32 v15, v7
	v_mov_b32_e32 v12, v4
	v_mov_b32_e32 v13, v5
	v_mov_b32_e32 v14, v6
	v_mov_b32_e32 v11, v3
	v_mov_b32_e32 v10, v2
	v_mov_b32_e32 v9, v1
	v_mov_b32_e32 v8, v0
	s_waitcnt vmcnt(0)
	v_cmp_neq_f16_e32 vcc, 0, v28
	v_cndmask_b32_e64 v12, 0, 1, vcc
	v_add_co_u32_e32 v12, vcc, v4, v12
	v_addc_co_u32_e32 v13, vcc, 0, v5, vcc
	s_cbranch_execz .LBB14_98
	s_branch .LBB14_99
.LBB14_97:
                                        ; implicit-def: $vgpr8_vgpr9_vgpr10_vgpr11_vgpr12_vgpr13_vgpr14_vgpr15
.LBB14_98:
	v_mad_u64_u32 v[8:9], s[6:7], s18, v27, 0
	v_mad_u64_u32 v[9:10], s[6:7], s19, v27, v[9:10]
	v_lshlrev_b64 v[8:9], 1, v[8:9]
	v_add_co_u32_e32 v8, vcc, v25, v8
	v_addc_co_u32_e32 v9, vcc, v26, v9, vcc
	global_load_ushort v8, v[8:9], off offset:256
	s_waitcnt vmcnt(0)
	v_cmp_neq_f16_e32 vcc, 0, v8
	v_cndmask_b32_e64 v8, 0, 1, vcc
	v_add_co_u32_e32 v4, vcc, v4, v8
	v_addc_co_u32_e32 v5, vcc, 0, v5, vcc
	v_mov_b32_e32 v15, v7
	v_mov_b32_e32 v14, v6
	v_mov_b32_e32 v13, v5
	v_mov_b32_e32 v12, v4
	v_mov_b32_e32 v11, v3
	v_mov_b32_e32 v10, v2
	v_mov_b32_e32 v9, v1
	v_mov_b32_e32 v8, v0
.LBB14_99:
	v_mov_b32_e32 v0, v8
	v_mov_b32_e32 v1, v9
	v_mov_b32_e32 v2, v10
	v_mov_b32_e32 v3, v11
	v_mov_b32_e32 v4, v12
	v_mov_b32_e32 v5, v13
	v_mov_b32_e32 v6, v14
	v_mov_b32_e32 v7, v15
.LBB14_100:
	;; [unrolled: 57-line block ×3, first 2 shown]
	s_or_b64 exec, exec, s[4:5]
.LBB14_107:
	s_or_b64 exec, exec, s[2:3]
	v_or_b32_e32 v8, 0xc0, v19
	v_cmp_gt_i32_e32 vcc, s13, v8
	s_and_saveexec_b64 s[2:3], vcc
	s_cbranch_execz .LBB14_133
; %bb.108:
	v_ashrrev_i32_e32 v10, 31, v8
	v_mul_lo_u32 v11, s19, v8
	v_mad_u64_u32 v[8:9], s[4:5], s18, v8, 0
	v_mul_lo_u32 v10, s18, v10
	v_add3_u32 v9, v9, v10, v11
	v_lshlrev_b64 v[8:9], 1, v[8:9]
	v_mov_b32_e32 v10, s17
	v_add_co_u32_e32 v21, vcc, v16, v8
	v_addc_co_u32_e32 v22, vcc, v18, v9, vcc
	v_lshlrev_b64 v[8:9], 1, v[19:20]
	v_add_co_u32_e32 v16, vcc, s16, v8
	v_addc_co_u32_e32 v18, vcc, v10, v9, vcc
	v_cndmask_b32_e64 v8, 0, 1, s[0:1]
	v_cmp_gt_i32_e32 vcc, s14, v17
	v_cmp_ne_u32_e64 s[0:1], 1, v8
	s_and_saveexec_b64 s[4:5], vcc
	s_cbranch_execz .LBB14_114
; %bb.109:
	s_and_b64 vcc, exec, s[0:1]
	s_cbranch_vccnz .LBB14_111
; %bb.110:
	global_load_ushort v19, v[21:22], off
	v_mov_b32_e32 v15, v7
	v_mov_b32_e32 v14, v6
	;; [unrolled: 1-line block ×8, first 2 shown]
	s_waitcnt vmcnt(0)
	v_cmp_neq_f16_e32 vcc, 0, v19
	v_cndmask_b32_e64 v14, 0, 1, vcc
	v_add_co_u32_e32 v14, vcc, v6, v14
	v_addc_co_u32_e32 v15, vcc, 0, v7, vcc
	s_cbranch_execz .LBB14_112
	s_branch .LBB14_113
.LBB14_111:
                                        ; implicit-def: $vgpr8_vgpr9_vgpr10_vgpr11_vgpr12_vgpr13_vgpr14_vgpr15
.LBB14_112:
	v_mad_u64_u32 v[8:9], s[6:7], s18, v17, 0
	v_mad_u64_u32 v[9:10], s[6:7], s19, v17, v[9:10]
	v_lshlrev_b64 v[8:9], 1, v[8:9]
	v_add_co_u32_e32 v8, vcc, v16, v8
	v_addc_co_u32_e32 v9, vcc, v18, v9, vcc
	global_load_ushort v8, v[8:9], off offset:384
	s_waitcnt vmcnt(0)
	v_cmp_neq_f16_e32 vcc, 0, v8
	v_cndmask_b32_e64 v8, 0, 1, vcc
	v_add_co_u32_e32 v6, vcc, v6, v8
	v_addc_co_u32_e32 v7, vcc, 0, v7, vcc
	v_mov_b32_e32 v15, v7
	v_mov_b32_e32 v14, v6
	;; [unrolled: 1-line block ×8, first 2 shown]
.LBB14_113:
	v_mov_b32_e32 v0, v8
	v_mov_b32_e32 v1, v9
	;; [unrolled: 1-line block ×8, first 2 shown]
.LBB14_114:
	s_or_b64 exec, exec, s[4:5]
	v_or_b32_e32 v19, 1, v17
	v_cmp_gt_i32_e32 vcc, s14, v19
	s_and_saveexec_b64 s[4:5], vcc
	s_cbranch_execz .LBB14_120
; %bb.115:
	s_and_b64 vcc, exec, s[0:1]
	s_cbranch_vccnz .LBB14_117
; %bb.116:
	global_load_ushort v20, v[21:22], off offset:2
	v_mov_b32_e32 v15, v7
	v_mov_b32_e32 v14, v6
	v_mov_b32_e32 v13, v5
	v_mov_b32_e32 v12, v4
	v_mov_b32_e32 v11, v3
	v_mov_b32_e32 v10, v2
	v_mov_b32_e32 v9, v1
	v_mov_b32_e32 v8, v0
	s_waitcnt vmcnt(0)
	v_cmp_neq_f16_e32 vcc, 0, v20
	v_cndmask_b32_e64 v14, 0, 1, vcc
	v_add_co_u32_e32 v14, vcc, v6, v14
	v_addc_co_u32_e32 v15, vcc, 0, v7, vcc
	s_cbranch_execz .LBB14_118
	s_branch .LBB14_119
.LBB14_117:
                                        ; implicit-def: $vgpr8_vgpr9_vgpr10_vgpr11_vgpr12_vgpr13_vgpr14_vgpr15
.LBB14_118:
	v_mad_u64_u32 v[8:9], s[6:7], s18, v19, 0
	v_mad_u64_u32 v[9:10], s[6:7], s19, v19, v[9:10]
	v_lshlrev_b64 v[8:9], 1, v[8:9]
	v_add_co_u32_e32 v8, vcc, v16, v8
	v_addc_co_u32_e32 v9, vcc, v18, v9, vcc
	global_load_ushort v8, v[8:9], off offset:384
	s_waitcnt vmcnt(0)
	v_cmp_neq_f16_e32 vcc, 0, v8
	v_cndmask_b32_e64 v8, 0, 1, vcc
	v_add_co_u32_e32 v6, vcc, v6, v8
	v_addc_co_u32_e32 v7, vcc, 0, v7, vcc
	v_mov_b32_e32 v15, v7
	v_mov_b32_e32 v14, v6
	v_mov_b32_e32 v13, v5
	v_mov_b32_e32 v12, v4
	v_mov_b32_e32 v11, v3
	v_mov_b32_e32 v10, v2
	v_mov_b32_e32 v9, v1
	v_mov_b32_e32 v8, v0
.LBB14_119:
	v_mov_b32_e32 v0, v8
	v_mov_b32_e32 v1, v9
	v_mov_b32_e32 v2, v10
	v_mov_b32_e32 v3, v11
	v_mov_b32_e32 v4, v12
	v_mov_b32_e32 v5, v13
	v_mov_b32_e32 v6, v14
	v_mov_b32_e32 v7, v15
.LBB14_120:
	s_or_b64 exec, exec, s[4:5]
	v_or_b32_e32 v19, 2, v17
	v_cmp_gt_i32_e32 vcc, s14, v19
	s_and_saveexec_b64 s[4:5], vcc
	s_cbranch_execz .LBB14_126
; %bb.121:
	s_and_b64 vcc, exec, s[0:1]
	s_cbranch_vccnz .LBB14_123
; %bb.122:
	global_load_ushort v20, v[21:22], off offset:4
	v_mov_b32_e32 v15, v7
	v_mov_b32_e32 v14, v6
	v_mov_b32_e32 v13, v5
	v_mov_b32_e32 v12, v4
	v_mov_b32_e32 v11, v3
	v_mov_b32_e32 v10, v2
	v_mov_b32_e32 v9, v1
	v_mov_b32_e32 v8, v0
	s_waitcnt vmcnt(0)
	v_cmp_neq_f16_e32 vcc, 0, v20
	v_cndmask_b32_e64 v14, 0, 1, vcc
	v_add_co_u32_e32 v14, vcc, v6, v14
	v_addc_co_u32_e32 v15, vcc, 0, v7, vcc
	s_cbranch_execz .LBB14_124
	s_branch .LBB14_125
.LBB14_123:
                                        ; implicit-def: $vgpr8_vgpr9_vgpr10_vgpr11_vgpr12_vgpr13_vgpr14_vgpr15
.LBB14_124:
	v_mad_u64_u32 v[8:9], s[6:7], s18, v19, 0
	v_mad_u64_u32 v[9:10], s[6:7], s19, v19, v[9:10]
	v_lshlrev_b64 v[8:9], 1, v[8:9]
	v_add_co_u32_e32 v8, vcc, v16, v8
	v_addc_co_u32_e32 v9, vcc, v18, v9, vcc
	global_load_ushort v8, v[8:9], off offset:384
	s_waitcnt vmcnt(0)
	v_cmp_neq_f16_e32 vcc, 0, v8
	v_cndmask_b32_e64 v8, 0, 1, vcc
	v_add_co_u32_e32 v6, vcc, v6, v8
	v_addc_co_u32_e32 v7, vcc, 0, v7, vcc
	v_mov_b32_e32 v15, v7
	v_mov_b32_e32 v14, v6
	v_mov_b32_e32 v13, v5
	v_mov_b32_e32 v12, v4
	v_mov_b32_e32 v11, v3
	v_mov_b32_e32 v10, v2
	v_mov_b32_e32 v9, v1
	v_mov_b32_e32 v8, v0
.LBB14_125:
	v_mov_b32_e32 v0, v8
	v_mov_b32_e32 v1, v9
	v_mov_b32_e32 v2, v10
	v_mov_b32_e32 v3, v11
	v_mov_b32_e32 v4, v12
	v_mov_b32_e32 v5, v13
	v_mov_b32_e32 v6, v14
	v_mov_b32_e32 v7, v15
.LBB14_126:
	;; [unrolled: 57-line block ×3, first 2 shown]
	s_or_b64 exec, exec, s[4:5]
.LBB14_133:
	s_or_b64 exec, exec, s[2:3]
.LBB14_134:
	v_lshlrev_b32_e32 v8, 5, v23
	v_lshlrev_b32_e32 v9, 3, v24
	s_movk_i32 s0, 0xf800
	v_and_or_b32 v8, v8, s0, v9
	s_movk_i32 s0, 0x100
	v_cmp_gt_u32_e32 vcc, s0, v23
	ds_write2st64_b64 v8, v[0:1], v[2:3] offset1:1
	ds_write2st64_b64 v8, v[4:5], v[6:7] offset0:2 offset1:3
	s_waitcnt lgkmcnt(0)
	s_barrier
	s_and_saveexec_b64 s[0:1], vcc
	s_cbranch_execz .LBB14_137
; %bb.135:
	v_lshlrev_b32_e32 v9, 3, v23
	ds_read2st64_b64 v[1:4], v9 offset1:4
	ds_read2st64_b64 v[5:8], v9 offset0:8 offset1:12
	v_add_u32_e32 v0, s15, v23
	s_waitcnt lgkmcnt(1)
	v_add_co_u32_e32 v1, vcc, v1, v3
	v_addc_co_u32_e32 v2, vcc, v2, v4, vcc
	s_waitcnt lgkmcnt(0)
	v_add_co_u32_e32 v5, vcc, v1, v5
	v_addc_co_u32_e32 v6, vcc, v2, v6, vcc
	ds_read2st64_b64 v[1:4], v9 offset0:16 offset1:20
	v_add_co_u32_e32 v5, vcc, v5, v7
	v_addc_co_u32_e32 v6, vcc, v6, v8, vcc
	s_waitcnt lgkmcnt(0)
	v_add_co_u32_e32 v1, vcc, v5, v1
	v_addc_co_u32_e32 v2, vcc, v6, v2, vcc
	ds_read2st64_b64 v[5:8], v9 offset0:24 offset1:28
	;; [unrolled: 6-line block ×6, first 2 shown]
	v_add_co_u32_e32 v1, vcc, v1, v3
	v_addc_co_u32_e32 v2, vcc, v2, v4, vcc
	s_waitcnt lgkmcnt(0)
	v_add_co_u32_e32 v1, vcc, v1, v5
	v_addc_co_u32_e32 v3, vcc, v2, v6, vcc
	v_add_co_u32_e32 v2, vcc, v1, v7
	v_addc_co_u32_e32 v3, vcc, v3, v8, vcc
	v_cmp_gt_i32_e32 vcc, s13, v0
	ds_write_b64 v9, v[2:3]
	s_and_b64 exec, exec, vcc
	s_cbranch_execz .LBB14_137
; %bb.136:
	v_ashrrev_i32_e32 v1, 31, v0
	v_lshlrev_b64 v[0:1], 3, v[0:1]
	v_mov_b32_e32 v4, s21
	v_add_co_u32_e32 v0, vcc, s20, v0
	v_addc_co_u32_e32 v1, vcc, v4, v1, vcc
	global_store_dwordx2 v[0:1], v[2:3], off
.LBB14_137:
	s_endpgm
	.section	.rodata,"a",@progbits
	.p2align	6, 0x0
	.amdhsa_kernel _ZN9rocsparseL14nnz_kernel_rowILi64ELi16EliDF16_EEv16rocsparse_order_T2_S2_PKT3_lPT1_
		.amdhsa_group_segment_fixed_size 32768
		.amdhsa_private_segment_fixed_size 0
		.amdhsa_kernarg_size 296
		.amdhsa_user_sgpr_count 6
		.amdhsa_user_sgpr_private_segment_buffer 1
		.amdhsa_user_sgpr_dispatch_ptr 0
		.amdhsa_user_sgpr_queue_ptr 0
		.amdhsa_user_sgpr_kernarg_segment_ptr 1
		.amdhsa_user_sgpr_dispatch_id 0
		.amdhsa_user_sgpr_flat_scratch_init 0
		.amdhsa_user_sgpr_private_segment_size 0
		.amdhsa_uses_dynamic_stack 0
		.amdhsa_system_sgpr_private_segment_wavefront_offset 0
		.amdhsa_system_sgpr_workgroup_id_x 1
		.amdhsa_system_sgpr_workgroup_id_y 0
		.amdhsa_system_sgpr_workgroup_id_z 0
		.amdhsa_system_sgpr_workgroup_info 0
		.amdhsa_system_vgpr_workitem_id 1
		.amdhsa_next_free_vgpr 38
		.amdhsa_next_free_sgpr 61
		.amdhsa_reserve_vcc 1
		.amdhsa_reserve_flat_scratch 0
		.amdhsa_float_round_mode_32 0
		.amdhsa_float_round_mode_16_64 0
		.amdhsa_float_denorm_mode_32 3
		.amdhsa_float_denorm_mode_16_64 3
		.amdhsa_dx10_clamp 1
		.amdhsa_ieee_mode 1
		.amdhsa_fp16_overflow 0
		.amdhsa_exception_fp_ieee_invalid_op 0
		.amdhsa_exception_fp_denorm_src 0
		.amdhsa_exception_fp_ieee_div_zero 0
		.amdhsa_exception_fp_ieee_overflow 0
		.amdhsa_exception_fp_ieee_underflow 0
		.amdhsa_exception_fp_ieee_inexact 0
		.amdhsa_exception_int_div_zero 0
	.end_amdhsa_kernel
	.section	.text._ZN9rocsparseL14nnz_kernel_rowILi64ELi16EliDF16_EEv16rocsparse_order_T2_S2_PKT3_lPT1_,"axG",@progbits,_ZN9rocsparseL14nnz_kernel_rowILi64ELi16EliDF16_EEv16rocsparse_order_T2_S2_PKT3_lPT1_,comdat
.Lfunc_end14:
	.size	_ZN9rocsparseL14nnz_kernel_rowILi64ELi16EliDF16_EEv16rocsparse_order_T2_S2_PKT3_lPT1_, .Lfunc_end14-_ZN9rocsparseL14nnz_kernel_rowILi64ELi16EliDF16_EEv16rocsparse_order_T2_S2_PKT3_lPT1_
                                        ; -- End function
	.set _ZN9rocsparseL14nnz_kernel_rowILi64ELi16EliDF16_EEv16rocsparse_order_T2_S2_PKT3_lPT1_.num_vgpr, 38
	.set _ZN9rocsparseL14nnz_kernel_rowILi64ELi16EliDF16_EEv16rocsparse_order_T2_S2_PKT3_lPT1_.num_agpr, 0
	.set _ZN9rocsparseL14nnz_kernel_rowILi64ELi16EliDF16_EEv16rocsparse_order_T2_S2_PKT3_lPT1_.numbered_sgpr, 34
	.set _ZN9rocsparseL14nnz_kernel_rowILi64ELi16EliDF16_EEv16rocsparse_order_T2_S2_PKT3_lPT1_.num_named_barrier, 0
	.set _ZN9rocsparseL14nnz_kernel_rowILi64ELi16EliDF16_EEv16rocsparse_order_T2_S2_PKT3_lPT1_.private_seg_size, 0
	.set _ZN9rocsparseL14nnz_kernel_rowILi64ELi16EliDF16_EEv16rocsparse_order_T2_S2_PKT3_lPT1_.uses_vcc, 1
	.set _ZN9rocsparseL14nnz_kernel_rowILi64ELi16EliDF16_EEv16rocsparse_order_T2_S2_PKT3_lPT1_.uses_flat_scratch, 0
	.set _ZN9rocsparseL14nnz_kernel_rowILi64ELi16EliDF16_EEv16rocsparse_order_T2_S2_PKT3_lPT1_.has_dyn_sized_stack, 0
	.set _ZN9rocsparseL14nnz_kernel_rowILi64ELi16EliDF16_EEv16rocsparse_order_T2_S2_PKT3_lPT1_.has_recursion, 0
	.set _ZN9rocsparseL14nnz_kernel_rowILi64ELi16EliDF16_EEv16rocsparse_order_T2_S2_PKT3_lPT1_.has_indirect_call, 0
	.section	.AMDGPU.csdata,"",@progbits
; Kernel info:
; codeLenInByte = 7064
; TotalNumSgprs: 38
; NumVgprs: 38
; ScratchSize: 0
; MemoryBound: 0
; FloatMode: 240
; IeeeMode: 1
; LDSByteSize: 32768 bytes/workgroup (compile time only)
; SGPRBlocks: 8
; VGPRBlocks: 9
; NumSGPRsForWavesPerEU: 65
; NumVGPRsForWavesPerEU: 38
; Occupancy: 6
; WaveLimiterHint : 0
; COMPUTE_PGM_RSRC2:SCRATCH_EN: 0
; COMPUTE_PGM_RSRC2:USER_SGPR: 6
; COMPUTE_PGM_RSRC2:TRAP_HANDLER: 0
; COMPUTE_PGM_RSRC2:TGID_X_EN: 1
; COMPUTE_PGM_RSRC2:TGID_Y_EN: 0
; COMPUTE_PGM_RSRC2:TGID_Z_EN: 0
; COMPUTE_PGM_RSRC2:TIDIG_COMP_CNT: 1
	.section	.text._ZN9rocsparseL14nnz_kernel_colILi256EliDF16_EEv16rocsparse_order_T1_S2_PKT2_lPT0_,"axG",@progbits,_ZN9rocsparseL14nnz_kernel_colILi256EliDF16_EEv16rocsparse_order_T1_S2_PKT2_lPT0_,comdat
	.globl	_ZN9rocsparseL14nnz_kernel_colILi256EliDF16_EEv16rocsparse_order_T1_S2_PKT2_lPT0_ ; -- Begin function _ZN9rocsparseL14nnz_kernel_colILi256EliDF16_EEv16rocsparse_order_T1_S2_PKT2_lPT0_
	.p2align	8
	.type	_ZN9rocsparseL14nnz_kernel_colILi256EliDF16_EEv16rocsparse_order_T1_S2_PKT2_lPT0_,@function
_ZN9rocsparseL14nnz_kernel_colILi256EliDF16_EEv16rocsparse_order_T1_S2_PKT2_lPT0_: ; @_ZN9rocsparseL14nnz_kernel_colILi256EliDF16_EEv16rocsparse_order_T1_S2_PKT2_lPT0_
; %bb.0:
	s_load_dwordx2 s[8:9], s[4:5], 0x0
	s_load_dwordx4 s[0:3], s[4:5], 0x10
	s_waitcnt lgkmcnt(0)
	s_ashr_i32 s7, s9, 31
	s_lshr_b32 s7, s7, 24
	s_add_i32 s7, s9, s7
	s_and_b32 s10, s7, 0xffffff00
	s_cmp_eq_u32 s8, 1
	s_cbranch_scc1 .LBB15_6
; %bb.1:
	v_mov_b32_e32 v1, 0
	v_mov_b32_e32 v2, 0
	s_cmpk_lt_i32 s9, 0x100
	s_cbranch_scc1 .LBB15_7
; %bb.2:
	v_mad_u64_u32 v[1:2], s[12:13], s2, v0, 0
	s_ashr_i32 s7, s6, 31
	v_mad_u64_u32 v[2:3], s[12:13], s3, v0, v[2:3]
	s_lshl_b64 s[12:13], s[6:7], 1
	s_add_u32 s7, s0, s12
	v_lshlrev_b64 v[1:2], 1, v[1:2]
	s_addc_u32 s8, s1, s13
	v_mov_b32_e32 v4, s8
	v_add_co_u32_e32 v3, vcc, s7, v1
	v_addc_co_u32_e32 v4, vcc, v4, v2, vcc
	s_lshl_b64 s[12:13], s[2:3], 9
	v_mov_b32_e32 v1, 0
	v_mov_b32_e32 v2, 0
	s_mov_b32 s7, 0
	v_mov_b32_e32 v5, s13
	s_branch .LBB15_4
.LBB15_3:                               ;   in Loop: Header=BB15_4 Depth=1
	s_or_b64 exec, exec, s[14:15]
	s_addk_i32 s7, 0x100
	v_add_co_u32_e32 v3, vcc, s12, v3
	s_cmp_ge_i32 s7, s10
	v_addc_co_u32_e32 v4, vcc, v4, v5, vcc
	s_cbranch_scc1 .LBB15_7
.LBB15_4:                               ; =>This Inner Loop Header: Depth=1
	v_add_u32_e32 v6, s7, v0
	v_cmp_gt_i32_e32 vcc, s9, v6
	s_and_saveexec_b64 s[14:15], vcc
	s_cbranch_execz .LBB15_3
; %bb.5:                                ;   in Loop: Header=BB15_4 Depth=1
	global_load_ushort v6, v[3:4], off
	s_waitcnt vmcnt(0)
	v_cmp_neq_f16_e32 vcc, 0, v6
	v_cndmask_b32_e64 v6, 0, 1, vcc
	v_add_co_u32_e32 v1, vcc, v1, v6
	v_addc_co_u32_e32 v2, vcc, 0, v2, vcc
	s_branch .LBB15_3
.LBB15_6:
                                        ; implicit-def: $vgpr1_vgpr2
	s_load_dwordx2 s[4:5], s[4:5], 0x20
	s_cbranch_execnz .LBB15_10
	s_branch .LBB15_16
.LBB15_7:
	v_add_u32_e32 v3, s10, v0
	v_cmp_gt_i32_e32 vcc, s9, v3
	s_and_saveexec_b64 s[12:13], vcc
	s_cbranch_execz .LBB15_9
; %bb.8:
	v_ashrrev_i32_e32 v4, 31, v3
	v_mul_lo_u32 v5, s3, v3
	v_mul_lo_u32 v6, s2, v4
	v_mad_u64_u32 v[3:4], s[14:15], s2, v3, 0
	s_ashr_i32 s7, s6, 31
	s_lshl_b64 s[14:15], s[6:7], 1
	v_add3_u32 v4, v4, v6, v5
	v_lshlrev_b64 v[3:4], 1, v[3:4]
	v_mov_b32_e32 v5, s1
	v_add_co_u32_e32 v3, vcc, s0, v3
	v_addc_co_u32_e32 v4, vcc, v5, v4, vcc
	v_mov_b32_e32 v5, s15
	v_add_co_u32_e32 v3, vcc, s14, v3
	v_addc_co_u32_e32 v4, vcc, v4, v5, vcc
	global_load_ushort v3, v[3:4], off
	s_waitcnt vmcnt(0)
	v_cmp_neq_f16_e32 vcc, 0, v3
	v_cndmask_b32_e64 v3, 0, 1, vcc
	v_add_co_u32_e32 v1, vcc, v1, v3
	v_addc_co_u32_e32 v2, vcc, 0, v2, vcc
.LBB15_9:
	s_or_b64 exec, exec, s[12:13]
	s_load_dwordx2 s[4:5], s[4:5], 0x20
	s_branch .LBB15_16
.LBB15_10:
	s_ashr_i32 s7, s6, 31
	s_mul_hi_u32 s8, s2, s6
	s_mul_i32 s7, s2, s7
	s_add_i32 s7, s8, s7
	s_mul_i32 s3, s3, s6
	s_add_i32 s13, s7, s3
	s_mul_i32 s12, s2, s6
	v_cmp_gt_i32_e32 vcc, s9, v0
	s_lshl_b64 s[12:13], s[12:13], 1
	v_cndmask_b32_e32 v1, 0, v0, vcc
	s_add_u32 s0, s0, s12
	s_addc_u32 s1, s1, s13
	v_lshlrev_b32_e32 v3, 1, v1
	v_mov_b32_e32 v4, s1
	v_mov_b32_e32 v1, 0
	v_add_co_u32_e32 v3, vcc, s0, v3
	s_mov_b32 s2, 0
	v_mov_b32_e32 v2, 0
	s_cmpk_lt_i32 s9, 0x100
	v_addc_co_u32_e32 v4, vcc, 0, v4, vcc
	s_cbranch_scc1 .LBB15_13
; %bb.11:
	v_mov_b32_e32 v1, 0
	v_mov_b32_e32 v6, v4
	;; [unrolled: 1-line block ×4, first 2 shown]
.LBB15_12:                              ; =>This Inner Loop Header: Depth=1
	global_load_ushort v7, v[5:6], off
	v_add_co_u32_e32 v5, vcc, 0x200, v5
	v_addc_co_u32_e32 v6, vcc, 0, v6, vcc
	s_addk_i32 s2, 0x100
	s_cmp_ge_i32 s2, s10
	s_waitcnt vmcnt(0)
	v_cmp_neq_f16_e32 vcc, 0, v7
	v_cndmask_b32_e64 v7, 0, 1, vcc
	v_add_co_u32_e32 v1, vcc, v1, v7
	v_addc_co_u32_e32 v2, vcc, 0, v2, vcc
	s_cbranch_scc0 .LBB15_12
.LBB15_13:
	v_add_u32_e32 v5, s10, v0
	v_cmp_gt_i32_e32 vcc, s9, v5
	s_and_saveexec_b64 s[0:1], vcc
	s_cbranch_execz .LBB15_15
; %bb.14:
	s_ashr_i32 s11, s10, 31
	s_lshl_b64 s[2:3], s[10:11], 1
	v_mov_b32_e32 v5, s3
	v_add_co_u32_e32 v3, vcc, s2, v3
	v_addc_co_u32_e32 v4, vcc, v4, v5, vcc
	global_load_ushort v3, v[3:4], off
	s_waitcnt vmcnt(0)
	v_cmp_neq_f16_e32 vcc, 0, v3
	v_cndmask_b32_e64 v3, 0, 1, vcc
	v_add_co_u32_e32 v1, vcc, v1, v3
	v_addc_co_u32_e32 v2, vcc, 0, v2, vcc
.LBB15_15:
	s_or_b64 exec, exec, s[0:1]
.LBB15_16:
	v_lshlrev_b32_e32 v3, 3, v0
	s_cmpk_lt_i32 s9, 0x100
	s_mov_b64 s[0:1], -1
	v_cmp_eq_u32_e32 vcc, 0, v0
	ds_write_b64 v3, v[1:2]
	s_waitcnt lgkmcnt(0)
	s_cbranch_scc1 .LBB15_20
; %bb.17:
	s_and_b64 vcc, exec, s[0:1]
	s_cbranch_vccnz .LBB15_30
.LBB15_18:
	v_cmp_eq_u32_e32 vcc, 0, v0
	s_and_saveexec_b64 s[0:1], vcc
	s_cbranch_execnz .LBB15_47
.LBB15_19:
	s_endpgm
.LBB15_20:
	s_cmp_gt_i32 s9, 1
	s_cselect_b64 s[0:1], -1, 0
	s_mov_b32 s3, 1
	s_and_b64 s[10:11], vcc, s[0:1]
	s_barrier
	s_and_saveexec_b64 s[0:1], s[10:11]
	s_cbranch_execz .LBB15_29
; %bb.21:
	v_mov_b32_e32 v1, 0
	ds_read_b64 v[1:2], v1
	s_add_i32 s2, s9, -1
	s_add_i32 s7, s9, -2
	s_cmp_lt_u32 s7, 7
	s_cbranch_scc1 .LBB15_25
; %bb.22:
	s_and_b32 s3, s2, -8
	s_mov_b32 s8, 0
	s_mov_b32 s7, 8
.LBB15_23:                              ; =>This Inner Loop Header: Depth=1
	v_mov_b32_e32 v16, s7
	ds_read2_b64 v[4:7], v16 offset1:1
	ds_read2_b64 v[8:11], v16 offset0:2 offset1:3
	ds_read2_b64 v[12:15], v16 offset0:4 offset1:5
	;; [unrolled: 1-line block ×3, first 2 shown]
	s_mov_b32 s9, s8
	s_waitcnt lgkmcnt(3)
	v_add_co_u32_e32 v1, vcc, v1, v4
	v_addc_co_u32_e32 v2, vcc, v2, v5, vcc
	v_add_co_u32_e32 v1, vcc, v1, v6
	v_addc_co_u32_e32 v2, vcc, v2, v7, vcc
	s_waitcnt lgkmcnt(2)
	v_add_co_u32_e32 v1, vcc, v1, v8
	v_addc_co_u32_e32 v2, vcc, v2, v9, vcc
	v_add_co_u32_e32 v1, vcc, v1, v10
	v_addc_co_u32_e32 v2, vcc, v2, v11, vcc
	s_waitcnt lgkmcnt(1)
	v_add_co_u32_e32 v1, vcc, v1, v12
	v_addc_co_u32_e32 v2, vcc, v2, v13, vcc
	v_add_co_u32_e32 v1, vcc, v1, v14
	v_addc_co_u32_e32 v2, vcc, v2, v15, vcc
	s_waitcnt lgkmcnt(0)
	v_add_co_u32_e32 v1, vcc, v1, v16
	v_addc_co_u32_e32 v2, vcc, v2, v17, vcc
	s_add_i32 s7, s7, 64
	s_add_i32 s8, s8, 8
	v_add_co_u32_e32 v1, vcc, v1, v18
	s_cmp_lg_u32 s3, s8
	v_addc_co_u32_e32 v2, vcc, v2, v19, vcc
	s_cbranch_scc1 .LBB15_23
; %bb.24:
	s_add_i32 s3, s9, 9
.LBB15_25:
	s_and_b32 s2, s2, 7
	s_cmp_eq_u32 s2, 0
	s_cbranch_scc1 .LBB15_28
; %bb.26:
	s_lshl_b32 s3, s3, 3
.LBB15_27:                              ; =>This Inner Loop Header: Depth=1
	v_mov_b32_e32 v4, s3
	ds_read_b64 v[4:5], v4
	s_add_i32 s3, s3, 8
	s_add_i32 s2, s2, -1
	s_cmp_lg_u32 s2, 0
	s_waitcnt lgkmcnt(0)
	v_add_co_u32_e32 v1, vcc, v1, v4
	v_addc_co_u32_e32 v2, vcc, v2, v5, vcc
	s_cbranch_scc1 .LBB15_27
.LBB15_28:
	v_mov_b32_e32 v4, 0
	s_waitcnt lgkmcnt(0)
	ds_write_b64 v4, v[1:2]
.LBB15_29:
	s_or_b64 exec, exec, s[0:1]
	s_waitcnt lgkmcnt(0)
	s_barrier
	s_branch .LBB15_18
.LBB15_30:
	s_movk_i32 s0, 0x80
	v_cmp_gt_u32_e32 vcc, s0, v0
	s_barrier
	s_and_saveexec_b64 s[0:1], vcc
	s_cbranch_execz .LBB15_32
; %bb.31:
	ds_read2st64_b64 v[4:7], v3 offset1:2
	s_waitcnt lgkmcnt(0)
	v_add_co_u32_e32 v1, vcc, v4, v6
	v_addc_co_u32_e32 v2, vcc, v5, v7, vcc
	ds_write_b64 v3, v[1:2]
.LBB15_32:
	s_or_b64 exec, exec, s[0:1]
	v_cmp_gt_u32_e32 vcc, 64, v0
	s_waitcnt lgkmcnt(0)
	s_barrier
	s_and_saveexec_b64 s[0:1], vcc
	s_cbranch_execz .LBB15_34
; %bb.33:
	ds_read2st64_b64 v[4:7], v3 offset1:1
	s_waitcnt lgkmcnt(0)
	v_add_co_u32_e32 v1, vcc, v4, v6
	v_addc_co_u32_e32 v2, vcc, v5, v7, vcc
	ds_write_b64 v3, v[1:2]
.LBB15_34:
	s_or_b64 exec, exec, s[0:1]
	v_cmp_gt_u32_e32 vcc, 32, v0
	s_waitcnt lgkmcnt(0)
	s_barrier
	s_and_saveexec_b64 s[0:1], vcc
	s_cbranch_execz .LBB15_36
; %bb.35:
	ds_read2_b64 v[4:7], v3 offset1:32
	s_waitcnt lgkmcnt(0)
	v_add_co_u32_e32 v1, vcc, v4, v6
	v_addc_co_u32_e32 v2, vcc, v5, v7, vcc
	ds_write_b64 v3, v[1:2]
.LBB15_36:
	s_or_b64 exec, exec, s[0:1]
	v_cmp_gt_u32_e32 vcc, 16, v0
	s_waitcnt lgkmcnt(0)
	s_barrier
	s_and_saveexec_b64 s[0:1], vcc
	s_cbranch_execz .LBB15_38
; %bb.37:
	ds_read2_b64 v[4:7], v3 offset1:16
	s_waitcnt lgkmcnt(0)
	v_add_co_u32_e32 v1, vcc, v4, v6
	v_addc_co_u32_e32 v2, vcc, v5, v7, vcc
	ds_write_b64 v3, v[1:2]
.LBB15_38:
	;; [unrolled: 13-line block ×5, first 2 shown]
	s_or_b64 exec, exec, s[0:1]
	v_cmp_eq_u32_e32 vcc, 0, v0
	s_waitcnt lgkmcnt(0)
	s_barrier
	s_and_saveexec_b64 s[0:1], vcc
	s_cbranch_execz .LBB15_46
; %bb.45:
	v_mov_b32_e32 v5, 0
	ds_read_b128 v[1:4], v5
	s_waitcnt lgkmcnt(0)
	v_add_co_u32_e32 v1, vcc, v1, v3
	v_addc_co_u32_e32 v2, vcc, v2, v4, vcc
	ds_write_b64 v5, v[1:2]
.LBB15_46:
	s_or_b64 exec, exec, s[0:1]
	s_waitcnt lgkmcnt(0)
	s_barrier
	v_cmp_eq_u32_e32 vcc, 0, v0
	s_and_saveexec_b64 s[0:1], vcc
	s_cbranch_execz .LBB15_19
.LBB15_47:
	v_mov_b32_e32 v2, 0
	ds_read_b64 v[0:1], v2
	s_ashr_i32 s7, s6, 31
	s_lshl_b64 s[0:1], s[6:7], 3
	s_add_u32 s0, s4, s0
	s_addc_u32 s1, s5, s1
	s_waitcnt lgkmcnt(0)
	global_store_dwordx2 v2, v[0:1], s[0:1]
	s_endpgm
	.section	.rodata,"a",@progbits
	.p2align	6, 0x0
	.amdhsa_kernel _ZN9rocsparseL14nnz_kernel_colILi256EliDF16_EEv16rocsparse_order_T1_S2_PKT2_lPT0_
		.amdhsa_group_segment_fixed_size 2048
		.amdhsa_private_segment_fixed_size 0
		.amdhsa_kernarg_size 40
		.amdhsa_user_sgpr_count 6
		.amdhsa_user_sgpr_private_segment_buffer 1
		.amdhsa_user_sgpr_dispatch_ptr 0
		.amdhsa_user_sgpr_queue_ptr 0
		.amdhsa_user_sgpr_kernarg_segment_ptr 1
		.amdhsa_user_sgpr_dispatch_id 0
		.amdhsa_user_sgpr_flat_scratch_init 0
		.amdhsa_user_sgpr_private_segment_size 0
		.amdhsa_uses_dynamic_stack 0
		.amdhsa_system_sgpr_private_segment_wavefront_offset 0
		.amdhsa_system_sgpr_workgroup_id_x 1
		.amdhsa_system_sgpr_workgroup_id_y 0
		.amdhsa_system_sgpr_workgroup_id_z 0
		.amdhsa_system_sgpr_workgroup_info 0
		.amdhsa_system_vgpr_workitem_id 0
		.amdhsa_next_free_vgpr 20
		.amdhsa_next_free_sgpr 16
		.amdhsa_reserve_vcc 1
		.amdhsa_reserve_flat_scratch 0
		.amdhsa_float_round_mode_32 0
		.amdhsa_float_round_mode_16_64 0
		.amdhsa_float_denorm_mode_32 3
		.amdhsa_float_denorm_mode_16_64 3
		.amdhsa_dx10_clamp 1
		.amdhsa_ieee_mode 1
		.amdhsa_fp16_overflow 0
		.amdhsa_exception_fp_ieee_invalid_op 0
		.amdhsa_exception_fp_denorm_src 0
		.amdhsa_exception_fp_ieee_div_zero 0
		.amdhsa_exception_fp_ieee_overflow 0
		.amdhsa_exception_fp_ieee_underflow 0
		.amdhsa_exception_fp_ieee_inexact 0
		.amdhsa_exception_int_div_zero 0
	.end_amdhsa_kernel
	.section	.text._ZN9rocsparseL14nnz_kernel_colILi256EliDF16_EEv16rocsparse_order_T1_S2_PKT2_lPT0_,"axG",@progbits,_ZN9rocsparseL14nnz_kernel_colILi256EliDF16_EEv16rocsparse_order_T1_S2_PKT2_lPT0_,comdat
.Lfunc_end15:
	.size	_ZN9rocsparseL14nnz_kernel_colILi256EliDF16_EEv16rocsparse_order_T1_S2_PKT2_lPT0_, .Lfunc_end15-_ZN9rocsparseL14nnz_kernel_colILi256EliDF16_EEv16rocsparse_order_T1_S2_PKT2_lPT0_
                                        ; -- End function
	.set _ZN9rocsparseL14nnz_kernel_colILi256EliDF16_EEv16rocsparse_order_T1_S2_PKT2_lPT0_.num_vgpr, 20
	.set _ZN9rocsparseL14nnz_kernel_colILi256EliDF16_EEv16rocsparse_order_T1_S2_PKT2_lPT0_.num_agpr, 0
	.set _ZN9rocsparseL14nnz_kernel_colILi256EliDF16_EEv16rocsparse_order_T1_S2_PKT2_lPT0_.numbered_sgpr, 16
	.set _ZN9rocsparseL14nnz_kernel_colILi256EliDF16_EEv16rocsparse_order_T1_S2_PKT2_lPT0_.num_named_barrier, 0
	.set _ZN9rocsparseL14nnz_kernel_colILi256EliDF16_EEv16rocsparse_order_T1_S2_PKT2_lPT0_.private_seg_size, 0
	.set _ZN9rocsparseL14nnz_kernel_colILi256EliDF16_EEv16rocsparse_order_T1_S2_PKT2_lPT0_.uses_vcc, 1
	.set _ZN9rocsparseL14nnz_kernel_colILi256EliDF16_EEv16rocsparse_order_T1_S2_PKT2_lPT0_.uses_flat_scratch, 0
	.set _ZN9rocsparseL14nnz_kernel_colILi256EliDF16_EEv16rocsparse_order_T1_S2_PKT2_lPT0_.has_dyn_sized_stack, 0
	.set _ZN9rocsparseL14nnz_kernel_colILi256EliDF16_EEv16rocsparse_order_T1_S2_PKT2_lPT0_.has_recursion, 0
	.set _ZN9rocsparseL14nnz_kernel_colILi256EliDF16_EEv16rocsparse_order_T1_S2_PKT2_lPT0_.has_indirect_call, 0
	.section	.AMDGPU.csdata,"",@progbits
; Kernel info:
; codeLenInByte = 1436
; TotalNumSgprs: 20
; NumVgprs: 20
; ScratchSize: 0
; MemoryBound: 0
; FloatMode: 240
; IeeeMode: 1
; LDSByteSize: 2048 bytes/workgroup (compile time only)
; SGPRBlocks: 2
; VGPRBlocks: 4
; NumSGPRsForWavesPerEU: 20
; NumVGPRsForWavesPerEU: 20
; Occupancy: 10
; WaveLimiterHint : 0
; COMPUTE_PGM_RSRC2:SCRATCH_EN: 0
; COMPUTE_PGM_RSRC2:USER_SGPR: 6
; COMPUTE_PGM_RSRC2:TRAP_HANDLER: 0
; COMPUTE_PGM_RSRC2:TGID_X_EN: 1
; COMPUTE_PGM_RSRC2:TGID_Y_EN: 0
; COMPUTE_PGM_RSRC2:TGID_Z_EN: 0
; COMPUTE_PGM_RSRC2:TIDIG_COMP_CNT: 0
	.section	.text._ZN9rocsparseL14nnz_kernel_rowILi64ELi16ElifEEv16rocsparse_order_T2_S2_PKT3_lPT1_,"axG",@progbits,_ZN9rocsparseL14nnz_kernel_rowILi64ELi16ElifEEv16rocsparse_order_T2_S2_PKT3_lPT1_,comdat
	.globl	_ZN9rocsparseL14nnz_kernel_rowILi64ELi16ElifEEv16rocsparse_order_T2_S2_PKT3_lPT1_ ; -- Begin function _ZN9rocsparseL14nnz_kernel_rowILi64ELi16ElifEEv16rocsparse_order_T2_S2_PKT3_lPT1_
	.p2align	8
	.type	_ZN9rocsparseL14nnz_kernel_rowILi64ELi16ElifEEv16rocsparse_order_T2_S2_PKT3_lPT1_,@function
_ZN9rocsparseL14nnz_kernel_rowILi64ELi16ElifEEv16rocsparse_order_T2_S2_PKT3_lPT1_: ; @_ZN9rocsparseL14nnz_kernel_rowILi64ELi16ElifEEv16rocsparse_order_T2_S2_PKT3_lPT1_
; %bb.0:
	s_load_dword s0, s[4:5], 0x34
	s_load_dwordx2 s[20:21], s[4:5], 0x20
	s_load_dwordx8 s[12:19], s[4:5], 0x0
	s_waitcnt lgkmcnt(0)
	s_lshl_b32 s15, s6, 8
	s_and_b32 s0, s0, 0xffff
	v_mad_u32_u24 v22, v1, s0, v0
	s_ashr_i32 s0, s14, 31
	s_lshr_b32 s0, s0, 26
	v_and_b32_e32 v23, 63, v22
	s_add_i32 s33, s14, s0
	v_lshrrev_b32_e32 v0, 4, v22
	v_or_b32_e32 v18, s15, v23
	s_andn2_b32 s33, s33, 63
	v_and_b32_e32 v16, 0x7ffffc, v0
	v_mov_b32_e32 v0, 0
	v_cmp_gt_i32_e32 vcc, s33, v16
	v_mov_b32_e32 v1, v0
	v_mov_b32_e32 v2, v0
	;; [unrolled: 1-line block ×7, first 2 shown]
	v_or_b32_e32 v24, 64, v18
	s_and_saveexec_b64 s[22:23], vcc
	s_cbranch_execz .LBB16_28
; %bb.1:
	v_lshrrev_b32_e32 v1, 6, v22
	v_lshlrev_b32_e32 v13, 2, v1
	v_or_b32_e32 v4, 3, v13
	v_mad_u64_u32 v[2:3], s[0:1], s18, v4, 0
	v_or_b32_e32 v8, 2, v13
	v_add_u32_e32 v6, s15, v23
	v_mad_u64_u32 v[3:4], s[0:1], s19, v4, v[3:4]
	v_mad_u64_u32 v[4:5], s[0:1], s18, v8, 0
	;; [unrolled: 1-line block ×4, first 2 shown]
	v_mov_b32_e32 v9, s18
	v_mov_b32_e32 v10, s19
	v_mad_u64_u32 v[9:10], s[0:1], s18, v13, v[9:10]
	v_mov_b32_e32 v5, v8
	v_ashrrev_i32_e32 v7, 31, v6
	v_mov_b32_e32 v8, v10
	v_mad_u64_u32 v[13:14], s[0:1], s19, v13, v[8:9]
	v_mov_b32_e32 v8, v12
	v_mad_u64_u32 v[14:15], s[0:1], s19, v1, v[8:9]
	v_mov_b32_e32 v10, v13
	v_mul_lo_u32 v13, s18, v7
	v_lshlrev_b64 v[2:3], 2, v[2:3]
	v_lshlrev_b64 v[7:8], 2, v[6:7]
	v_mov_b32_e32 v12, v14
	v_add_co_u32_e32 v17, vcc, v2, v7
	v_addc_co_u32_e32 v19, vcc, v3, v8, vcc
	v_lshlrev_b64 v[2:3], 2, v[4:5]
	v_mad_u64_u32 v[4:5], s[0:1], s18, v6, 0
	v_add_co_u32_e32 v20, vcc, v2, v7
	v_addc_co_u32_e32 v21, vcc, v3, v8, vcc
	v_lshlrev_b64 v[2:3], 2, v[9:10]
	v_mul_lo_u32 v9, s19, v6
	v_add_co_u32_e32 v25, vcc, v2, v7
	v_addc_co_u32_e32 v26, vcc, v3, v8, vcc
	v_lshlrev_b64 v[2:3], 4, v[11:12]
	v_add3_u32 v5, v5, v13, v9
	v_add_co_u32_e32 v27, vcc, v2, v7
	v_add_u32_e32 v2, 64, v6
	v_addc_co_u32_e32 v28, vcc, v3, v8, vcc
	v_ashrrev_i32_e32 v3, 31, v2
	v_add_u32_e32 v7, 0x80, v6
	v_add_u32_e32 v6, 0xc0, v6
	v_mul_lo_u32 v11, s18, v3
	v_mul_lo_u32 v12, s19, v2
	v_mad_u64_u32 v[2:3], s[0:1], s18, v2, 0
	v_ashrrev_i32_e32 v9, 31, v6
	v_ashrrev_i32_e32 v8, 31, v7
	v_mul_lo_u32 v15, s18, v9
	v_mul_lo_u32 v29, s19, v6
	v_mad_u64_u32 v[9:10], s[0:1], s18, v6, 0
	v_mul_lo_u32 v13, s18, v8
	v_mul_lo_u32 v14, s19, v7
	v_mad_u64_u32 v[7:8], s[0:1], s18, v7, 0
	v_or_b32_e32 v6, 0x80, v18
	v_cmp_gt_i32_e64 s[0:1], s13, v6
	v_or_b32_e32 v6, 0xc0, v18
	v_lshlrev_b64 v[4:5], 2, v[4:5]
	v_add3_u32 v3, v3, v11, v12
	v_cmp_gt_i32_e64 s[2:3], s13, v6
	v_lshlrev_b32_e32 v6, 4, v1
	v_add3_u32 v10, v10, v15, v29
	v_add_co_u32_e32 v29, vcc, v4, v6
	v_lshlrev_b64 v[1:2], 2, v[2:3]
	v_addc_co_u32_e32 v30, vcc, 0, v5, vcc
	v_add3_u32 v8, v8, v13, v14
	v_add_co_u32_e32 v31, vcc, v1, v6
	v_addc_co_u32_e32 v32, vcc, 0, v2, vcc
	v_lshlrev_b64 v[1:2], 2, v[7:8]
	s_cmp_lg_u32 s12, 1
	v_add_co_u32_e32 v33, vcc, v1, v6
	v_addc_co_u32_e32 v34, vcc, 0, v2, vcc
	v_lshlrev_b64 v[1:2], 2, v[9:10]
	s_cselect_b64 s[24:25], -1, 0
	v_add_co_u32_e32 v35, vcc, v1, v6
	v_addc_co_u32_e32 v36, vcc, 0, v2, vcc
	v_cmp_gt_i32_e64 s[4:5], s13, v18
	v_cmp_gt_i32_e64 s[6:7], s13, v24
	s_lshl_b64 s[26:27], s[18:19], 8
	v_mov_b32_e32 v1, v0
	v_mov_b32_e32 v2, v0
	v_mov_b32_e32 v3, v0
	v_mov_b32_e32 v4, v0
	v_mov_b32_e32 v5, v0
	v_mov_b32_e32 v6, v0
	v_mov_b32_e32 v7, v0
	s_mov_b64 s[28:29], 0
	s_branch .LBB16_4
.LBB16_2:                               ;   in Loop: Header=BB16_4 Depth=1
	v_mov_b32_e32 v0, v8
	v_mov_b32_e32 v1, v9
	;; [unrolled: 1-line block ×8, first 2 shown]
.LBB16_3:                               ;   in Loop: Header=BB16_4 Depth=1
	s_or_b64 exec, exec, s[10:11]
	v_add_co_u32_e32 v29, vcc, 0x100, v29
	v_addc_co_u32_e32 v30, vcc, 0, v30, vcc
	v_mov_b32_e32 v8, s27
	v_add_co_u32_e32 v17, vcc, s26, v17
	v_addc_co_u32_e32 v19, vcc, v19, v8, vcc
	v_add_co_u32_e32 v31, vcc, 0x100, v31
	v_addc_co_u32_e32 v32, vcc, 0, v32, vcc
	;; [unrolled: 2-line block ×5, first 2 shown]
	v_add_co_u32_e32 v35, vcc, 0x100, v35
	v_add_u32_e32 v16, 64, v16
	v_addc_co_u32_e32 v36, vcc, 0, v36, vcc
	v_cmp_le_i32_e32 vcc, s33, v16
	s_or_b64 s[28:29], vcc, s[28:29]
	v_add_co_u32_e32 v27, vcc, s26, v27
	v_addc_co_u32_e32 v28, vcc, v28, v8, vcc
	s_andn2_b64 exec, exec, s[28:29]
	s_cbranch_execz .LBB16_27
.LBB16_4:                               ; =>This Inner Loop Header: Depth=1
	v_cndmask_b32_e64 v8, 0, 1, s[24:25]
	v_cmp_ne_u32_e64 s[8:9], 1, v8
	s_and_saveexec_b64 s[30:31], s[4:5]
	s_cbranch_execnz .LBB16_8
; %bb.5:                                ;   in Loop: Header=BB16_4 Depth=1
	s_or_b64 exec, exec, s[30:31]
	s_and_saveexec_b64 s[30:31], s[6:7]
	s_cbranch_execnz .LBB16_13
.LBB16_6:                               ;   in Loop: Header=BB16_4 Depth=1
	s_or_b64 exec, exec, s[30:31]
	s_and_saveexec_b64 s[30:31], s[0:1]
	s_cbranch_execnz .LBB16_18
.LBB16_7:                               ;   in Loop: Header=BB16_4 Depth=1
	s_or_b64 exec, exec, s[30:31]
	s_and_saveexec_b64 s[10:11], s[2:3]
	s_cbranch_execz .LBB16_3
	s_branch .LBB16_23
.LBB16_8:                               ;   in Loop: Header=BB16_4 Depth=1
	s_and_b64 vcc, exec, s[8:9]
	s_mov_b64 s[10:11], -1
                                        ; implicit-def: $vgpr8_vgpr9_vgpr10_vgpr11_vgpr12_vgpr13_vgpr14_vgpr15
	s_cbranch_vccnz .LBB16_10
; %bb.9:                                ;   in Loop: Header=BB16_4 Depth=1
	v_add_co_u32_e32 v8, vcc, s16, v29
	v_mov_b32_e32 v9, s17
	v_addc_co_u32_e32 v9, vcc, v9, v30, vcc
	global_load_dwordx4 v[8:11], v[8:9], off
	v_mov_b32_e32 v14, v6
	v_mov_b32_e32 v15, v7
	s_waitcnt vmcnt(0)
	v_cmp_neq_f32_e32 vcc, 0, v8
	v_add_co_u32_e64 v8, s[10:11], 1, v0
	v_addc_co_u32_e64 v12, s[10:11], 0, v1, s[10:11]
	v_cndmask_b32_e32 v8, v0, v8, vcc
	v_cndmask_b32_e32 v12, v1, v12, vcc
	v_cmp_neq_f32_e32 vcc, 0, v9
	v_add_co_u32_e64 v9, s[10:11], 1, v8
	v_addc_co_u32_e64 v13, s[10:11], 0, v12, s[10:11]
	v_cndmask_b32_e32 v8, v8, v9, vcc
	v_cndmask_b32_e32 v12, v12, v13, vcc
	;; [unrolled: 5-line block ×4, first 2 shown]
	v_mov_b32_e32 v10, v2
	v_mov_b32_e32 v11, v3
	;; [unrolled: 1-line block ×4, first 2 shown]
	s_mov_b64 s[10:11], 0
.LBB16_10:                              ;   in Loop: Header=BB16_4 Depth=1
	s_andn2_b64 vcc, exec, s[10:11]
	s_cbranch_vccnz .LBB16_12
; %bb.11:                               ;   in Loop: Header=BB16_4 Depth=1
	v_mov_b32_e32 v9, s17
	v_add_co_u32_e32 v8, vcc, s16, v27
	v_addc_co_u32_e32 v9, vcc, v9, v28, vcc
	global_load_dword v10, v[8:9], off
	v_mov_b32_e32 v9, s17
	v_add_co_u32_e32 v8, vcc, s16, v25
	v_addc_co_u32_e32 v9, vcc, v9, v26, vcc
	global_load_dword v11, v[8:9], off
	;; [unrolled: 4-line block ×4, first 2 shown]
	v_add_co_u32_e32 v9, vcc, 1, v0
	v_addc_co_u32_e32 v13, vcc, 0, v1, vcc
	s_waitcnt vmcnt(3)
	v_cmp_neq_f32_e32 vcc, 0, v10
	v_cndmask_b32_e32 v0, v0, v9, vcc
	v_cndmask_b32_e32 v1, v1, v13, vcc
	v_add_co_u32_e32 v9, vcc, 1, v0
	v_addc_co_u32_e32 v10, vcc, 0, v1, vcc
	s_waitcnt vmcnt(2)
	v_cmp_neq_f32_e32 vcc, 0, v11
	v_cndmask_b32_e32 v0, v0, v9, vcc
	v_cndmask_b32_e32 v1, v1, v10, vcc
	;; [unrolled: 6-line block ×4, first 2 shown]
	v_mov_b32_e32 v15, v7
	v_mov_b32_e32 v14, v6
	;; [unrolled: 1-line block ×8, first 2 shown]
.LBB16_12:                              ;   in Loop: Header=BB16_4 Depth=1
	v_mov_b32_e32 v0, v8
	v_mov_b32_e32 v1, v9
	;; [unrolled: 1-line block ×8, first 2 shown]
	s_or_b64 exec, exec, s[30:31]
	s_and_saveexec_b64 s[30:31], s[6:7]
	s_cbranch_execz .LBB16_6
.LBB16_13:                              ;   in Loop: Header=BB16_4 Depth=1
	s_and_b64 vcc, exec, s[8:9]
	s_mov_b64 s[10:11], -1
                                        ; implicit-def: $vgpr8_vgpr9_vgpr10_vgpr11_vgpr12_vgpr13_vgpr14_vgpr15
	s_cbranch_vccnz .LBB16_15
; %bb.14:                               ;   in Loop: Header=BB16_4 Depth=1
	v_add_co_u32_e32 v8, vcc, s16, v31
	v_mov_b32_e32 v9, s17
	v_addc_co_u32_e32 v9, vcc, v9, v32, vcc
	global_load_dwordx4 v[8:11], v[8:9], off
	v_mov_b32_e32 v14, v6
	v_mov_b32_e32 v15, v7
	s_waitcnt vmcnt(0)
	v_cmp_neq_f32_e32 vcc, 0, v8
	v_add_co_u32_e64 v8, s[10:11], 1, v2
	v_addc_co_u32_e64 v12, s[10:11], 0, v3, s[10:11]
	v_cndmask_b32_e32 v8, v2, v8, vcc
	v_cndmask_b32_e32 v12, v3, v12, vcc
	v_cmp_neq_f32_e32 vcc, 0, v9
	v_add_co_u32_e64 v9, s[10:11], 1, v8
	v_addc_co_u32_e64 v13, s[10:11], 0, v12, s[10:11]
	v_cndmask_b32_e32 v8, v8, v9, vcc
	v_cndmask_b32_e32 v12, v12, v13, vcc
	;; [unrolled: 5-line block ×3, first 2 shown]
	v_add_co_u32_e64 v9, s[10:11], 1, v8
	v_cmp_neq_f32_e32 vcc, 0, v11
	v_addc_co_u32_e64 v11, s[10:11], 0, v10, s[10:11]
	v_cndmask_b32_e32 v11, v10, v11, vcc
	v_cndmask_b32_e32 v10, v8, v9, vcc
	v_mov_b32_e32 v8, v0
	v_mov_b32_e32 v9, v1
	;; [unrolled: 1-line block ×4, first 2 shown]
	s_mov_b64 s[10:11], 0
.LBB16_15:                              ;   in Loop: Header=BB16_4 Depth=1
	s_andn2_b64 vcc, exec, s[10:11]
	s_cbranch_vccnz .LBB16_17
; %bb.16:                               ;   in Loop: Header=BB16_4 Depth=1
	v_mov_b32_e32 v9, s17
	v_add_co_u32_e32 v8, vcc, s16, v27
	v_addc_co_u32_e32 v9, vcc, v9, v28, vcc
	global_load_dword v10, v[8:9], off offset:256
	v_mov_b32_e32 v9, s17
	v_add_co_u32_e32 v8, vcc, s16, v25
	v_addc_co_u32_e32 v9, vcc, v9, v26, vcc
	global_load_dword v11, v[8:9], off offset:256
	v_mov_b32_e32 v9, s17
	v_add_co_u32_e32 v8, vcc, s16, v20
	v_addc_co_u32_e32 v9, vcc, v9, v21, vcc
	global_load_dword v12, v[8:9], off offset:256
	v_mov_b32_e32 v9, s17
	v_add_co_u32_e32 v8, vcc, s16, v17
	v_addc_co_u32_e32 v9, vcc, v9, v19, vcc
	global_load_dword v8, v[8:9], off offset:256
	v_add_co_u32_e32 v9, vcc, 1, v2
	v_addc_co_u32_e32 v13, vcc, 0, v3, vcc
	s_waitcnt vmcnt(3)
	v_cmp_neq_f32_e32 vcc, 0, v10
	v_cndmask_b32_e32 v2, v2, v9, vcc
	v_cndmask_b32_e32 v3, v3, v13, vcc
	v_add_co_u32_e32 v9, vcc, 1, v2
	v_addc_co_u32_e32 v10, vcc, 0, v3, vcc
	s_waitcnt vmcnt(2)
	v_cmp_neq_f32_e32 vcc, 0, v11
	v_cndmask_b32_e32 v2, v2, v9, vcc
	v_cndmask_b32_e32 v3, v3, v10, vcc
	;; [unrolled: 6-line block ×4, first 2 shown]
	v_mov_b32_e32 v15, v7
	v_mov_b32_e32 v14, v6
	;; [unrolled: 1-line block ×8, first 2 shown]
.LBB16_17:                              ;   in Loop: Header=BB16_4 Depth=1
	v_mov_b32_e32 v0, v8
	v_mov_b32_e32 v1, v9
	v_mov_b32_e32 v2, v10
	v_mov_b32_e32 v3, v11
	v_mov_b32_e32 v4, v12
	v_mov_b32_e32 v5, v13
	v_mov_b32_e32 v6, v14
	v_mov_b32_e32 v7, v15
	s_or_b64 exec, exec, s[30:31]
	s_and_saveexec_b64 s[30:31], s[0:1]
	s_cbranch_execz .LBB16_7
.LBB16_18:                              ;   in Loop: Header=BB16_4 Depth=1
	s_and_b64 vcc, exec, s[8:9]
	s_mov_b64 s[10:11], -1
                                        ; implicit-def: $vgpr8_vgpr9_vgpr10_vgpr11_vgpr12_vgpr13_vgpr14_vgpr15
	s_cbranch_vccnz .LBB16_20
; %bb.19:                               ;   in Loop: Header=BB16_4 Depth=1
	v_add_co_u32_e32 v8, vcc, s16, v33
	v_mov_b32_e32 v9, s17
	v_addc_co_u32_e32 v9, vcc, v9, v34, vcc
	global_load_dwordx4 v[8:11], v[8:9], off
	v_mov_b32_e32 v14, v6
	v_mov_b32_e32 v15, v7
	s_waitcnt vmcnt(0)
	v_cmp_neq_f32_e32 vcc, 0, v8
	v_add_co_u32_e64 v8, s[10:11], 1, v4
	v_addc_co_u32_e64 v12, s[10:11], 0, v5, s[10:11]
	v_cndmask_b32_e32 v8, v4, v8, vcc
	v_cndmask_b32_e32 v12, v5, v12, vcc
	v_cmp_neq_f32_e32 vcc, 0, v9
	v_add_co_u32_e64 v9, s[10:11], 1, v8
	v_addc_co_u32_e64 v13, s[10:11], 0, v12, s[10:11]
	v_cndmask_b32_e32 v8, v8, v9, vcc
	v_cndmask_b32_e32 v12, v12, v13, vcc
	;; [unrolled: 5-line block ×3, first 2 shown]
	v_add_co_u32_e64 v9, s[10:11], 1, v8
	v_cmp_neq_f32_e32 vcc, 0, v11
	v_addc_co_u32_e64 v11, s[10:11], 0, v10, s[10:11]
	v_cndmask_b32_e32 v13, v10, v11, vcc
	v_cndmask_b32_e32 v12, v8, v9, vcc
	v_mov_b32_e32 v8, v0
	v_mov_b32_e32 v9, v1
	;; [unrolled: 1-line block ×4, first 2 shown]
	s_mov_b64 s[10:11], 0
.LBB16_20:                              ;   in Loop: Header=BB16_4 Depth=1
	s_andn2_b64 vcc, exec, s[10:11]
	s_cbranch_vccnz .LBB16_22
; %bb.21:                               ;   in Loop: Header=BB16_4 Depth=1
	v_mov_b32_e32 v9, s17
	v_add_co_u32_e32 v8, vcc, s16, v27
	v_addc_co_u32_e32 v9, vcc, v9, v28, vcc
	global_load_dword v10, v[8:9], off offset:512
	v_mov_b32_e32 v9, s17
	v_add_co_u32_e32 v8, vcc, s16, v25
	v_addc_co_u32_e32 v9, vcc, v9, v26, vcc
	global_load_dword v11, v[8:9], off offset:512
	;; [unrolled: 4-line block ×4, first 2 shown]
	v_add_co_u32_e32 v9, vcc, 1, v4
	v_addc_co_u32_e32 v13, vcc, 0, v5, vcc
	s_waitcnt vmcnt(3)
	v_cmp_neq_f32_e32 vcc, 0, v10
	v_cndmask_b32_e32 v4, v4, v9, vcc
	v_cndmask_b32_e32 v5, v5, v13, vcc
	v_add_co_u32_e32 v9, vcc, 1, v4
	v_addc_co_u32_e32 v10, vcc, 0, v5, vcc
	s_waitcnt vmcnt(2)
	v_cmp_neq_f32_e32 vcc, 0, v11
	v_cndmask_b32_e32 v4, v4, v9, vcc
	v_cndmask_b32_e32 v5, v5, v10, vcc
	;; [unrolled: 6-line block ×4, first 2 shown]
	v_mov_b32_e32 v15, v7
	v_mov_b32_e32 v14, v6
	;; [unrolled: 1-line block ×8, first 2 shown]
.LBB16_22:                              ;   in Loop: Header=BB16_4 Depth=1
	v_mov_b32_e32 v0, v8
	v_mov_b32_e32 v1, v9
	;; [unrolled: 1-line block ×8, first 2 shown]
	s_or_b64 exec, exec, s[30:31]
	s_and_saveexec_b64 s[10:11], s[2:3]
	s_cbranch_execz .LBB16_3
.LBB16_23:                              ;   in Loop: Header=BB16_4 Depth=1
	s_and_b64 vcc, exec, s[8:9]
	s_mov_b64 s[8:9], -1
                                        ; implicit-def: $vgpr8_vgpr9_vgpr10_vgpr11_vgpr12_vgpr13_vgpr14_vgpr15
	s_cbranch_vccnz .LBB16_25
; %bb.24:                               ;   in Loop: Header=BB16_4 Depth=1
	v_add_co_u32_e32 v8, vcc, s16, v35
	v_mov_b32_e32 v9, s17
	v_addc_co_u32_e32 v9, vcc, v9, v36, vcc
	global_load_dwordx4 v[8:11], v[8:9], off
	s_waitcnt vmcnt(0)
	v_cmp_neq_f32_e32 vcc, 0, v8
	v_add_co_u32_e64 v8, s[8:9], 1, v6
	v_addc_co_u32_e64 v12, s[8:9], 0, v7, s[8:9]
	v_cndmask_b32_e32 v8, v6, v8, vcc
	v_cndmask_b32_e32 v12, v7, v12, vcc
	v_cmp_neq_f32_e32 vcc, 0, v9
	v_add_co_u32_e64 v9, s[8:9], 1, v8
	v_addc_co_u32_e64 v13, s[8:9], 0, v12, s[8:9]
	v_cndmask_b32_e32 v8, v8, v9, vcc
	v_cndmask_b32_e32 v12, v12, v13, vcc
	;; [unrolled: 5-line block ×3, first 2 shown]
	v_add_co_u32_e64 v9, s[8:9], 1, v8
	v_cmp_neq_f32_e32 vcc, 0, v11
	v_addc_co_u32_e64 v11, s[8:9], 0, v10, s[8:9]
	v_cndmask_b32_e32 v15, v10, v11, vcc
	v_cndmask_b32_e32 v14, v8, v9, vcc
	v_mov_b32_e32 v8, v0
	v_mov_b32_e32 v9, v1
	v_mov_b32_e32 v10, v2
	v_mov_b32_e32 v11, v3
	v_mov_b32_e32 v12, v4
	v_mov_b32_e32 v13, v5
	s_mov_b64 s[8:9], 0
.LBB16_25:                              ;   in Loop: Header=BB16_4 Depth=1
	s_andn2_b64 vcc, exec, s[8:9]
	s_cbranch_vccnz .LBB16_2
; %bb.26:                               ;   in Loop: Header=BB16_4 Depth=1
	v_mov_b32_e32 v9, s17
	v_add_co_u32_e32 v8, vcc, s16, v27
	v_addc_co_u32_e32 v9, vcc, v9, v28, vcc
	global_load_dword v10, v[8:9], off offset:768
	v_mov_b32_e32 v9, s17
	v_add_co_u32_e32 v8, vcc, s16, v25
	v_addc_co_u32_e32 v9, vcc, v9, v26, vcc
	global_load_dword v11, v[8:9], off offset:768
	;; [unrolled: 4-line block ×4, first 2 shown]
	v_add_co_u32_e32 v9, vcc, 1, v6
	v_addc_co_u32_e32 v13, vcc, 0, v7, vcc
	s_waitcnt vmcnt(3)
	v_cmp_neq_f32_e32 vcc, 0, v10
	v_cndmask_b32_e32 v6, v6, v9, vcc
	v_cndmask_b32_e32 v7, v7, v13, vcc
	v_add_co_u32_e32 v9, vcc, 1, v6
	v_addc_co_u32_e32 v10, vcc, 0, v7, vcc
	s_waitcnt vmcnt(2)
	v_cmp_neq_f32_e32 vcc, 0, v11
	v_cndmask_b32_e32 v6, v6, v9, vcc
	v_cndmask_b32_e32 v7, v7, v10, vcc
	;; [unrolled: 6-line block ×4, first 2 shown]
	v_mov_b32_e32 v15, v7
	v_mov_b32_e32 v14, v6
	;; [unrolled: 1-line block ×8, first 2 shown]
	s_branch .LBB16_2
.LBB16_27:
	s_or_b64 exec, exec, s[28:29]
.LBB16_28:
	s_or_b64 exec, exec, s[22:23]
	s_sub_i32 s0, s14, s33
	s_cmp_lt_i32 s0, 1
	s_cbranch_scc1 .LBB16_134
; %bb.29:
	v_mov_b32_e32 v17, 0
	v_lshlrev_b64 v[8:9], 2, v[16:17]
	v_mov_b32_e32 v10, s17
	v_add_co_u32_e32 v17, vcc, s16, v8
	s_cmp_lg_u32 s12, 1
	v_addc_co_u32_e32 v25, vcc, v10, v9, vcc
	s_cselect_b64 s[0:1], -1, 0
	v_cmp_gt_i32_e32 vcc, s13, v18
	v_ashrrev_i32_e32 v19, 31, v18
	s_and_saveexec_b64 s[2:3], vcc
	s_cbranch_execz .LBB16_55
; %bb.30:
	v_mul_lo_u32 v10, s19, v18
	v_mul_lo_u32 v11, s18, v19
	v_mad_u64_u32 v[8:9], s[4:5], s18, v18, 0
	v_add3_u32 v9, v9, v11, v10
	v_lshlrev_b64 v[8:9], 2, v[8:9]
	v_mov_b32_e32 v10, s17
	v_add_co_u32_e32 v20, vcc, v17, v8
	v_addc_co_u32_e32 v21, vcc, v25, v9, vcc
	v_lshlrev_b64 v[8:9], 2, v[18:19]
	v_add_co_u32_e32 v26, vcc, s16, v8
	v_addc_co_u32_e32 v27, vcc, v10, v9, vcc
	v_cmp_gt_i32_e32 vcc, s14, v16
	s_and_saveexec_b64 s[4:5], vcc
	s_cbranch_execz .LBB16_36
; %bb.31:
	s_and_b64 vcc, exec, s[0:1]
	s_cbranch_vccz .LBB16_33
; %bb.32:
	global_load_dword v28, v[20:21], off
	v_mov_b32_e32 v15, v7
	v_mov_b32_e32 v8, v0
	v_mov_b32_e32 v9, v1
	v_mov_b32_e32 v14, v6
	v_mov_b32_e32 v13, v5
	v_mov_b32_e32 v12, v4
	v_mov_b32_e32 v11, v3
	v_mov_b32_e32 v10, v2
	s_waitcnt vmcnt(0)
	v_cmp_neq_f32_e32 vcc, 0, v28
	v_cndmask_b32_e64 v8, 0, 1, vcc
	v_add_co_u32_e32 v8, vcc, v0, v8
	v_addc_co_u32_e32 v9, vcc, 0, v1, vcc
	s_cbranch_execz .LBB16_34
	s_branch .LBB16_35
.LBB16_33:
                                        ; implicit-def: $vgpr8_vgpr9_vgpr10_vgpr11_vgpr12_vgpr13_vgpr14_vgpr15
.LBB16_34:
	v_mad_u64_u32 v[8:9], s[6:7], s18, v16, 0
	v_mad_u64_u32 v[9:10], s[6:7], s19, v16, v[9:10]
	v_lshlrev_b64 v[8:9], 2, v[8:9]
	v_add_co_u32_e32 v8, vcc, v26, v8
	v_addc_co_u32_e32 v9, vcc, v27, v9, vcc
	global_load_dword v8, v[8:9], off
	s_waitcnt vmcnt(0)
	v_cmp_neq_f32_e32 vcc, 0, v8
	v_cndmask_b32_e64 v8, 0, 1, vcc
	v_add_co_u32_e32 v0, vcc, v0, v8
	v_addc_co_u32_e32 v1, vcc, 0, v1, vcc
	v_mov_b32_e32 v15, v7
	v_mov_b32_e32 v14, v6
	;; [unrolled: 1-line block ×8, first 2 shown]
.LBB16_35:
	v_mov_b32_e32 v0, v8
	v_mov_b32_e32 v1, v9
	;; [unrolled: 1-line block ×8, first 2 shown]
.LBB16_36:
	s_or_b64 exec, exec, s[4:5]
	v_or_b32_e32 v28, 1, v16
	v_cmp_gt_i32_e32 vcc, s14, v28
	s_and_saveexec_b64 s[4:5], vcc
	s_cbranch_execz .LBB16_42
; %bb.37:
	s_andn2_b64 vcc, exec, s[0:1]
	s_cbranch_vccnz .LBB16_39
; %bb.38:
	global_load_dword v29, v[20:21], off offset:4
	v_mov_b32_e32 v15, v7
	v_mov_b32_e32 v8, v0
	v_mov_b32_e32 v9, v1
	v_mov_b32_e32 v14, v6
	v_mov_b32_e32 v13, v5
	v_mov_b32_e32 v12, v4
	v_mov_b32_e32 v11, v3
	v_mov_b32_e32 v10, v2
	s_waitcnt vmcnt(0)
	v_cmp_neq_f32_e32 vcc, 0, v29
	v_cndmask_b32_e64 v8, 0, 1, vcc
	v_add_co_u32_e32 v8, vcc, v0, v8
	v_addc_co_u32_e32 v9, vcc, 0, v1, vcc
	s_cbranch_execz .LBB16_40
	s_branch .LBB16_41
.LBB16_39:
                                        ; implicit-def: $vgpr8_vgpr9_vgpr10_vgpr11_vgpr12_vgpr13_vgpr14_vgpr15
.LBB16_40:
	v_mad_u64_u32 v[8:9], s[6:7], s18, v28, 0
	v_mad_u64_u32 v[9:10], s[6:7], s19, v28, v[9:10]
	v_lshlrev_b64 v[8:9], 2, v[8:9]
	v_add_co_u32_e32 v8, vcc, v26, v8
	v_addc_co_u32_e32 v9, vcc, v27, v9, vcc
	global_load_dword v8, v[8:9], off
	s_waitcnt vmcnt(0)
	v_cmp_neq_f32_e32 vcc, 0, v8
	v_cndmask_b32_e64 v8, 0, 1, vcc
	v_add_co_u32_e32 v0, vcc, v0, v8
	v_addc_co_u32_e32 v1, vcc, 0, v1, vcc
	v_mov_b32_e32 v15, v7
	v_mov_b32_e32 v14, v6
	v_mov_b32_e32 v13, v5
	v_mov_b32_e32 v12, v4
	v_mov_b32_e32 v11, v3
	v_mov_b32_e32 v10, v2
	v_mov_b32_e32 v9, v1
	v_mov_b32_e32 v8, v0
.LBB16_41:
	v_mov_b32_e32 v0, v8
	v_mov_b32_e32 v1, v9
	v_mov_b32_e32 v2, v10
	v_mov_b32_e32 v3, v11
	v_mov_b32_e32 v4, v12
	v_mov_b32_e32 v5, v13
	v_mov_b32_e32 v6, v14
	v_mov_b32_e32 v7, v15
.LBB16_42:
	s_or_b64 exec, exec, s[4:5]
	v_or_b32_e32 v28, 2, v16
	v_cmp_gt_i32_e32 vcc, s14, v28
	s_and_saveexec_b64 s[4:5], vcc
	s_cbranch_execz .LBB16_48
; %bb.43:
	s_andn2_b64 vcc, exec, s[0:1]
	s_cbranch_vccnz .LBB16_45
; %bb.44:
	global_load_dword v29, v[20:21], off offset:8
	v_mov_b32_e32 v15, v7
	v_mov_b32_e32 v8, v0
	v_mov_b32_e32 v9, v1
	v_mov_b32_e32 v14, v6
	v_mov_b32_e32 v13, v5
	v_mov_b32_e32 v12, v4
	v_mov_b32_e32 v11, v3
	v_mov_b32_e32 v10, v2
	s_waitcnt vmcnt(0)
	v_cmp_neq_f32_e32 vcc, 0, v29
	v_cndmask_b32_e64 v8, 0, 1, vcc
	v_add_co_u32_e32 v8, vcc, v0, v8
	v_addc_co_u32_e32 v9, vcc, 0, v1, vcc
	s_cbranch_execz .LBB16_46
	s_branch .LBB16_47
.LBB16_45:
                                        ; implicit-def: $vgpr8_vgpr9_vgpr10_vgpr11_vgpr12_vgpr13_vgpr14_vgpr15
.LBB16_46:
	v_mad_u64_u32 v[8:9], s[6:7], s18, v28, 0
	v_mad_u64_u32 v[9:10], s[6:7], s19, v28, v[9:10]
	v_lshlrev_b64 v[8:9], 2, v[8:9]
	v_add_co_u32_e32 v8, vcc, v26, v8
	v_addc_co_u32_e32 v9, vcc, v27, v9, vcc
	global_load_dword v8, v[8:9], off
	s_waitcnt vmcnt(0)
	v_cmp_neq_f32_e32 vcc, 0, v8
	v_cndmask_b32_e64 v8, 0, 1, vcc
	v_add_co_u32_e32 v0, vcc, v0, v8
	v_addc_co_u32_e32 v1, vcc, 0, v1, vcc
	v_mov_b32_e32 v15, v7
	v_mov_b32_e32 v14, v6
	v_mov_b32_e32 v13, v5
	v_mov_b32_e32 v12, v4
	v_mov_b32_e32 v11, v3
	v_mov_b32_e32 v10, v2
	v_mov_b32_e32 v9, v1
	v_mov_b32_e32 v8, v0
.LBB16_47:
	v_mov_b32_e32 v0, v8
	v_mov_b32_e32 v1, v9
	v_mov_b32_e32 v2, v10
	v_mov_b32_e32 v3, v11
	v_mov_b32_e32 v4, v12
	v_mov_b32_e32 v5, v13
	v_mov_b32_e32 v6, v14
	v_mov_b32_e32 v7, v15
.LBB16_48:
	;; [unrolled: 57-line block ×3, first 2 shown]
	s_or_b64 exec, exec, s[4:5]
.LBB16_55:
	s_or_b64 exec, exec, s[2:3]
	v_cmp_gt_i32_e32 vcc, s13, v24
	s_and_saveexec_b64 s[2:3], vcc
	s_cbranch_execz .LBB16_81
; %bb.56:
	v_ashrrev_i32_e32 v10, 31, v24
	v_mul_lo_u32 v11, s19, v24
	v_mad_u64_u32 v[8:9], s[4:5], s18, v24, 0
	v_mul_lo_u32 v10, s18, v10
	v_add3_u32 v9, v9, v10, v11
	v_lshlrev_b64 v[8:9], 2, v[8:9]
	v_mov_b32_e32 v10, s17
	v_add_co_u32_e32 v20, vcc, v17, v8
	v_addc_co_u32_e32 v21, vcc, v25, v9, vcc
	v_lshlrev_b64 v[8:9], 2, v[18:19]
	v_add_co_u32_e32 v24, vcc, s16, v8
	v_addc_co_u32_e32 v26, vcc, v10, v9, vcc
	v_cmp_gt_i32_e32 vcc, s14, v16
	s_and_saveexec_b64 s[4:5], vcc
	s_cbranch_execz .LBB16_62
; %bb.57:
	s_andn2_b64 vcc, exec, s[0:1]
	s_cbranch_vccnz .LBB16_59
; %bb.58:
	global_load_dword v27, v[20:21], off
	v_mov_b32_e32 v15, v7
	v_mov_b32_e32 v10, v2
	;; [unrolled: 1-line block ×8, first 2 shown]
	s_waitcnt vmcnt(0)
	v_cmp_neq_f32_e32 vcc, 0, v27
	v_cndmask_b32_e64 v10, 0, 1, vcc
	v_add_co_u32_e32 v10, vcc, v2, v10
	v_addc_co_u32_e32 v11, vcc, 0, v3, vcc
	s_cbranch_execz .LBB16_60
	s_branch .LBB16_61
.LBB16_59:
                                        ; implicit-def: $vgpr8_vgpr9_vgpr10_vgpr11_vgpr12_vgpr13_vgpr14_vgpr15
.LBB16_60:
	v_mad_u64_u32 v[8:9], s[6:7], s18, v16, 0
	v_mad_u64_u32 v[9:10], s[6:7], s19, v16, v[9:10]
	v_lshlrev_b64 v[8:9], 2, v[8:9]
	v_add_co_u32_e32 v8, vcc, v24, v8
	v_addc_co_u32_e32 v9, vcc, v26, v9, vcc
	global_load_dword v8, v[8:9], off offset:256
	s_waitcnt vmcnt(0)
	v_cmp_neq_f32_e32 vcc, 0, v8
	v_cndmask_b32_e64 v8, 0, 1, vcc
	v_add_co_u32_e32 v2, vcc, v2, v8
	v_addc_co_u32_e32 v3, vcc, 0, v3, vcc
	v_mov_b32_e32 v15, v7
	v_mov_b32_e32 v14, v6
	;; [unrolled: 1-line block ×8, first 2 shown]
.LBB16_61:
	v_mov_b32_e32 v0, v8
	v_mov_b32_e32 v1, v9
	;; [unrolled: 1-line block ×8, first 2 shown]
.LBB16_62:
	s_or_b64 exec, exec, s[4:5]
	v_or_b32_e32 v27, 1, v16
	v_cmp_gt_i32_e32 vcc, s14, v27
	s_and_saveexec_b64 s[4:5], vcc
	s_cbranch_execz .LBB16_68
; %bb.63:
	s_andn2_b64 vcc, exec, s[0:1]
	s_cbranch_vccnz .LBB16_65
; %bb.64:
	global_load_dword v28, v[20:21], off offset:4
	v_mov_b32_e32 v15, v7
	v_mov_b32_e32 v10, v2
	v_mov_b32_e32 v11, v3
	v_mov_b32_e32 v14, v6
	v_mov_b32_e32 v13, v5
	v_mov_b32_e32 v12, v4
	v_mov_b32_e32 v9, v1
	v_mov_b32_e32 v8, v0
	s_waitcnt vmcnt(0)
	v_cmp_neq_f32_e32 vcc, 0, v28
	v_cndmask_b32_e64 v10, 0, 1, vcc
	v_add_co_u32_e32 v10, vcc, v2, v10
	v_addc_co_u32_e32 v11, vcc, 0, v3, vcc
	s_cbranch_execz .LBB16_66
	s_branch .LBB16_67
.LBB16_65:
                                        ; implicit-def: $vgpr8_vgpr9_vgpr10_vgpr11_vgpr12_vgpr13_vgpr14_vgpr15
.LBB16_66:
	v_mad_u64_u32 v[8:9], s[6:7], s18, v27, 0
	v_mad_u64_u32 v[9:10], s[6:7], s19, v27, v[9:10]
	v_lshlrev_b64 v[8:9], 2, v[8:9]
	v_add_co_u32_e32 v8, vcc, v24, v8
	v_addc_co_u32_e32 v9, vcc, v26, v9, vcc
	global_load_dword v8, v[8:9], off offset:256
	s_waitcnt vmcnt(0)
	v_cmp_neq_f32_e32 vcc, 0, v8
	v_cndmask_b32_e64 v8, 0, 1, vcc
	v_add_co_u32_e32 v2, vcc, v2, v8
	v_addc_co_u32_e32 v3, vcc, 0, v3, vcc
	v_mov_b32_e32 v15, v7
	v_mov_b32_e32 v14, v6
	v_mov_b32_e32 v13, v5
	v_mov_b32_e32 v12, v4
	v_mov_b32_e32 v11, v3
	v_mov_b32_e32 v10, v2
	v_mov_b32_e32 v9, v1
	v_mov_b32_e32 v8, v0
.LBB16_67:
	v_mov_b32_e32 v0, v8
	v_mov_b32_e32 v1, v9
	v_mov_b32_e32 v2, v10
	v_mov_b32_e32 v3, v11
	v_mov_b32_e32 v4, v12
	v_mov_b32_e32 v5, v13
	v_mov_b32_e32 v6, v14
	v_mov_b32_e32 v7, v15
.LBB16_68:
	s_or_b64 exec, exec, s[4:5]
	v_or_b32_e32 v27, 2, v16
	v_cmp_gt_i32_e32 vcc, s14, v27
	s_and_saveexec_b64 s[4:5], vcc
	s_cbranch_execz .LBB16_74
; %bb.69:
	s_andn2_b64 vcc, exec, s[0:1]
	s_cbranch_vccnz .LBB16_71
; %bb.70:
	global_load_dword v28, v[20:21], off offset:8
	v_mov_b32_e32 v15, v7
	v_mov_b32_e32 v10, v2
	v_mov_b32_e32 v11, v3
	v_mov_b32_e32 v14, v6
	v_mov_b32_e32 v13, v5
	v_mov_b32_e32 v12, v4
	v_mov_b32_e32 v9, v1
	v_mov_b32_e32 v8, v0
	s_waitcnt vmcnt(0)
	v_cmp_neq_f32_e32 vcc, 0, v28
	v_cndmask_b32_e64 v10, 0, 1, vcc
	v_add_co_u32_e32 v10, vcc, v2, v10
	v_addc_co_u32_e32 v11, vcc, 0, v3, vcc
	s_cbranch_execz .LBB16_72
	s_branch .LBB16_73
.LBB16_71:
                                        ; implicit-def: $vgpr8_vgpr9_vgpr10_vgpr11_vgpr12_vgpr13_vgpr14_vgpr15
.LBB16_72:
	v_mad_u64_u32 v[8:9], s[6:7], s18, v27, 0
	v_mad_u64_u32 v[9:10], s[6:7], s19, v27, v[9:10]
	v_lshlrev_b64 v[8:9], 2, v[8:9]
	v_add_co_u32_e32 v8, vcc, v24, v8
	v_addc_co_u32_e32 v9, vcc, v26, v9, vcc
	global_load_dword v8, v[8:9], off offset:256
	s_waitcnt vmcnt(0)
	v_cmp_neq_f32_e32 vcc, 0, v8
	v_cndmask_b32_e64 v8, 0, 1, vcc
	v_add_co_u32_e32 v2, vcc, v2, v8
	v_addc_co_u32_e32 v3, vcc, 0, v3, vcc
	v_mov_b32_e32 v15, v7
	v_mov_b32_e32 v14, v6
	v_mov_b32_e32 v13, v5
	v_mov_b32_e32 v12, v4
	v_mov_b32_e32 v11, v3
	v_mov_b32_e32 v10, v2
	v_mov_b32_e32 v9, v1
	v_mov_b32_e32 v8, v0
.LBB16_73:
	v_mov_b32_e32 v0, v8
	v_mov_b32_e32 v1, v9
	v_mov_b32_e32 v2, v10
	v_mov_b32_e32 v3, v11
	v_mov_b32_e32 v4, v12
	v_mov_b32_e32 v5, v13
	v_mov_b32_e32 v6, v14
	v_mov_b32_e32 v7, v15
.LBB16_74:
	;; [unrolled: 57-line block ×3, first 2 shown]
	s_or_b64 exec, exec, s[4:5]
.LBB16_81:
	s_or_b64 exec, exec, s[2:3]
	v_or_b32_e32 v8, 0x80, v18
	v_cmp_gt_i32_e32 vcc, s13, v8
	s_and_saveexec_b64 s[2:3], vcc
	s_cbranch_execz .LBB16_107
; %bb.82:
	v_ashrrev_i32_e32 v10, 31, v8
	v_mul_lo_u32 v11, s19, v8
	v_mad_u64_u32 v[8:9], s[4:5], s18, v8, 0
	v_mul_lo_u32 v10, s18, v10
	v_add3_u32 v9, v9, v10, v11
	v_lshlrev_b64 v[8:9], 2, v[8:9]
	v_mov_b32_e32 v10, s17
	v_add_co_u32_e32 v20, vcc, v17, v8
	v_addc_co_u32_e32 v21, vcc, v25, v9, vcc
	v_lshlrev_b64 v[8:9], 2, v[18:19]
	v_add_co_u32_e32 v24, vcc, s16, v8
	v_addc_co_u32_e32 v26, vcc, v10, v9, vcc
	v_cmp_gt_i32_e32 vcc, s14, v16
	s_and_saveexec_b64 s[4:5], vcc
	s_cbranch_execz .LBB16_88
; %bb.83:
	s_andn2_b64 vcc, exec, s[0:1]
	s_cbranch_vccnz .LBB16_85
; %bb.84:
	global_load_dword v27, v[20:21], off
	v_mov_b32_e32 v15, v7
	v_mov_b32_e32 v12, v4
	;; [unrolled: 1-line block ×8, first 2 shown]
	s_waitcnt vmcnt(0)
	v_cmp_neq_f32_e32 vcc, 0, v27
	v_cndmask_b32_e64 v12, 0, 1, vcc
	v_add_co_u32_e32 v12, vcc, v4, v12
	v_addc_co_u32_e32 v13, vcc, 0, v5, vcc
	s_cbranch_execz .LBB16_86
	s_branch .LBB16_87
.LBB16_85:
                                        ; implicit-def: $vgpr8_vgpr9_vgpr10_vgpr11_vgpr12_vgpr13_vgpr14_vgpr15
.LBB16_86:
	v_mad_u64_u32 v[8:9], s[6:7], s18, v16, 0
	v_mad_u64_u32 v[9:10], s[6:7], s19, v16, v[9:10]
	v_lshlrev_b64 v[8:9], 2, v[8:9]
	v_add_co_u32_e32 v8, vcc, v24, v8
	v_addc_co_u32_e32 v9, vcc, v26, v9, vcc
	global_load_dword v8, v[8:9], off offset:512
	s_waitcnt vmcnt(0)
	v_cmp_neq_f32_e32 vcc, 0, v8
	v_cndmask_b32_e64 v8, 0, 1, vcc
	v_add_co_u32_e32 v4, vcc, v4, v8
	v_addc_co_u32_e32 v5, vcc, 0, v5, vcc
	v_mov_b32_e32 v15, v7
	v_mov_b32_e32 v14, v6
	v_mov_b32_e32 v13, v5
	v_mov_b32_e32 v12, v4
	v_mov_b32_e32 v11, v3
	v_mov_b32_e32 v10, v2
	v_mov_b32_e32 v9, v1
	v_mov_b32_e32 v8, v0
.LBB16_87:
	v_mov_b32_e32 v0, v8
	v_mov_b32_e32 v1, v9
	;; [unrolled: 1-line block ×8, first 2 shown]
.LBB16_88:
	s_or_b64 exec, exec, s[4:5]
	v_or_b32_e32 v27, 1, v16
	v_cmp_gt_i32_e32 vcc, s14, v27
	s_and_saveexec_b64 s[4:5], vcc
	s_cbranch_execz .LBB16_94
; %bb.89:
	s_andn2_b64 vcc, exec, s[0:1]
	s_cbranch_vccnz .LBB16_91
; %bb.90:
	global_load_dword v28, v[20:21], off offset:4
	v_mov_b32_e32 v15, v7
	v_mov_b32_e32 v12, v4
	v_mov_b32_e32 v13, v5
	v_mov_b32_e32 v14, v6
	v_mov_b32_e32 v11, v3
	v_mov_b32_e32 v10, v2
	v_mov_b32_e32 v9, v1
	v_mov_b32_e32 v8, v0
	s_waitcnt vmcnt(0)
	v_cmp_neq_f32_e32 vcc, 0, v28
	v_cndmask_b32_e64 v12, 0, 1, vcc
	v_add_co_u32_e32 v12, vcc, v4, v12
	v_addc_co_u32_e32 v13, vcc, 0, v5, vcc
	s_cbranch_execz .LBB16_92
	s_branch .LBB16_93
.LBB16_91:
                                        ; implicit-def: $vgpr8_vgpr9_vgpr10_vgpr11_vgpr12_vgpr13_vgpr14_vgpr15
.LBB16_92:
	v_mad_u64_u32 v[8:9], s[6:7], s18, v27, 0
	v_mad_u64_u32 v[9:10], s[6:7], s19, v27, v[9:10]
	v_lshlrev_b64 v[8:9], 2, v[8:9]
	v_add_co_u32_e32 v8, vcc, v24, v8
	v_addc_co_u32_e32 v9, vcc, v26, v9, vcc
	global_load_dword v8, v[8:9], off offset:512
	s_waitcnt vmcnt(0)
	v_cmp_neq_f32_e32 vcc, 0, v8
	v_cndmask_b32_e64 v8, 0, 1, vcc
	v_add_co_u32_e32 v4, vcc, v4, v8
	v_addc_co_u32_e32 v5, vcc, 0, v5, vcc
	v_mov_b32_e32 v15, v7
	v_mov_b32_e32 v14, v6
	v_mov_b32_e32 v13, v5
	v_mov_b32_e32 v12, v4
	v_mov_b32_e32 v11, v3
	v_mov_b32_e32 v10, v2
	v_mov_b32_e32 v9, v1
	v_mov_b32_e32 v8, v0
.LBB16_93:
	v_mov_b32_e32 v0, v8
	v_mov_b32_e32 v1, v9
	v_mov_b32_e32 v2, v10
	v_mov_b32_e32 v3, v11
	v_mov_b32_e32 v4, v12
	v_mov_b32_e32 v5, v13
	v_mov_b32_e32 v6, v14
	v_mov_b32_e32 v7, v15
.LBB16_94:
	s_or_b64 exec, exec, s[4:5]
	v_or_b32_e32 v27, 2, v16
	v_cmp_gt_i32_e32 vcc, s14, v27
	s_and_saveexec_b64 s[4:5], vcc
	s_cbranch_execz .LBB16_100
; %bb.95:
	s_andn2_b64 vcc, exec, s[0:1]
	s_cbranch_vccnz .LBB16_97
; %bb.96:
	global_load_dword v28, v[20:21], off offset:8
	v_mov_b32_e32 v15, v7
	v_mov_b32_e32 v12, v4
	v_mov_b32_e32 v13, v5
	v_mov_b32_e32 v14, v6
	v_mov_b32_e32 v11, v3
	v_mov_b32_e32 v10, v2
	v_mov_b32_e32 v9, v1
	v_mov_b32_e32 v8, v0
	s_waitcnt vmcnt(0)
	v_cmp_neq_f32_e32 vcc, 0, v28
	v_cndmask_b32_e64 v12, 0, 1, vcc
	v_add_co_u32_e32 v12, vcc, v4, v12
	v_addc_co_u32_e32 v13, vcc, 0, v5, vcc
	s_cbranch_execz .LBB16_98
	s_branch .LBB16_99
.LBB16_97:
                                        ; implicit-def: $vgpr8_vgpr9_vgpr10_vgpr11_vgpr12_vgpr13_vgpr14_vgpr15
.LBB16_98:
	v_mad_u64_u32 v[8:9], s[6:7], s18, v27, 0
	v_mad_u64_u32 v[9:10], s[6:7], s19, v27, v[9:10]
	v_lshlrev_b64 v[8:9], 2, v[8:9]
	v_add_co_u32_e32 v8, vcc, v24, v8
	v_addc_co_u32_e32 v9, vcc, v26, v9, vcc
	global_load_dword v8, v[8:9], off offset:512
	s_waitcnt vmcnt(0)
	v_cmp_neq_f32_e32 vcc, 0, v8
	v_cndmask_b32_e64 v8, 0, 1, vcc
	v_add_co_u32_e32 v4, vcc, v4, v8
	v_addc_co_u32_e32 v5, vcc, 0, v5, vcc
	v_mov_b32_e32 v15, v7
	v_mov_b32_e32 v14, v6
	v_mov_b32_e32 v13, v5
	v_mov_b32_e32 v12, v4
	v_mov_b32_e32 v11, v3
	v_mov_b32_e32 v10, v2
	v_mov_b32_e32 v9, v1
	v_mov_b32_e32 v8, v0
.LBB16_99:
	v_mov_b32_e32 v0, v8
	v_mov_b32_e32 v1, v9
	v_mov_b32_e32 v2, v10
	v_mov_b32_e32 v3, v11
	v_mov_b32_e32 v4, v12
	v_mov_b32_e32 v5, v13
	v_mov_b32_e32 v6, v14
	v_mov_b32_e32 v7, v15
.LBB16_100:
	;; [unrolled: 57-line block ×3, first 2 shown]
	s_or_b64 exec, exec, s[4:5]
.LBB16_107:
	s_or_b64 exec, exec, s[2:3]
	v_or_b32_e32 v8, 0xc0, v18
	v_cmp_gt_i32_e32 vcc, s13, v8
	s_and_saveexec_b64 s[2:3], vcc
	s_cbranch_execz .LBB16_133
; %bb.108:
	v_ashrrev_i32_e32 v10, 31, v8
	v_mul_lo_u32 v11, s19, v8
	v_mad_u64_u32 v[8:9], s[4:5], s18, v8, 0
	v_mul_lo_u32 v10, s18, v10
	v_add3_u32 v9, v9, v10, v11
	v_lshlrev_b64 v[8:9], 2, v[8:9]
	v_mov_b32_e32 v10, s17
	v_add_co_u32_e32 v20, vcc, v17, v8
	v_addc_co_u32_e32 v21, vcc, v25, v9, vcc
	v_lshlrev_b64 v[8:9], 2, v[18:19]
	v_add_co_u32_e32 v17, vcc, s16, v8
	v_addc_co_u32_e32 v18, vcc, v10, v9, vcc
	v_cndmask_b32_e64 v8, 0, 1, s[0:1]
	v_cmp_gt_i32_e32 vcc, s14, v16
	v_cmp_ne_u32_e64 s[0:1], 1, v8
	s_and_saveexec_b64 s[4:5], vcc
	s_cbranch_execz .LBB16_114
; %bb.109:
	s_and_b64 vcc, exec, s[0:1]
	s_cbranch_vccnz .LBB16_111
; %bb.110:
	global_load_dword v19, v[20:21], off
	v_mov_b32_e32 v15, v7
	v_mov_b32_e32 v14, v6
	;; [unrolled: 1-line block ×8, first 2 shown]
	s_waitcnt vmcnt(0)
	v_cmp_neq_f32_e32 vcc, 0, v19
	v_cndmask_b32_e64 v14, 0, 1, vcc
	v_add_co_u32_e32 v14, vcc, v6, v14
	v_addc_co_u32_e32 v15, vcc, 0, v7, vcc
	s_cbranch_execz .LBB16_112
	s_branch .LBB16_113
.LBB16_111:
                                        ; implicit-def: $vgpr8_vgpr9_vgpr10_vgpr11_vgpr12_vgpr13_vgpr14_vgpr15
.LBB16_112:
	v_mad_u64_u32 v[8:9], s[6:7], s18, v16, 0
	v_mad_u64_u32 v[9:10], s[6:7], s19, v16, v[9:10]
	v_lshlrev_b64 v[8:9], 2, v[8:9]
	v_add_co_u32_e32 v8, vcc, v17, v8
	v_addc_co_u32_e32 v9, vcc, v18, v9, vcc
	global_load_dword v8, v[8:9], off offset:768
	s_waitcnt vmcnt(0)
	v_cmp_neq_f32_e32 vcc, 0, v8
	v_cndmask_b32_e64 v8, 0, 1, vcc
	v_add_co_u32_e32 v6, vcc, v6, v8
	v_addc_co_u32_e32 v7, vcc, 0, v7, vcc
	v_mov_b32_e32 v15, v7
	v_mov_b32_e32 v14, v6
	;; [unrolled: 1-line block ×8, first 2 shown]
.LBB16_113:
	v_mov_b32_e32 v0, v8
	v_mov_b32_e32 v1, v9
	;; [unrolled: 1-line block ×8, first 2 shown]
.LBB16_114:
	s_or_b64 exec, exec, s[4:5]
	v_or_b32_e32 v19, 1, v16
	v_cmp_gt_i32_e32 vcc, s14, v19
	s_and_saveexec_b64 s[4:5], vcc
	s_cbranch_execz .LBB16_120
; %bb.115:
	s_and_b64 vcc, exec, s[0:1]
	s_cbranch_vccnz .LBB16_117
; %bb.116:
	global_load_dword v24, v[20:21], off offset:4
	v_mov_b32_e32 v15, v7
	v_mov_b32_e32 v14, v6
	v_mov_b32_e32 v13, v5
	v_mov_b32_e32 v12, v4
	v_mov_b32_e32 v11, v3
	v_mov_b32_e32 v10, v2
	v_mov_b32_e32 v9, v1
	v_mov_b32_e32 v8, v0
	s_waitcnt vmcnt(0)
	v_cmp_neq_f32_e32 vcc, 0, v24
	v_cndmask_b32_e64 v14, 0, 1, vcc
	v_add_co_u32_e32 v14, vcc, v6, v14
	v_addc_co_u32_e32 v15, vcc, 0, v7, vcc
	s_cbranch_execz .LBB16_118
	s_branch .LBB16_119
.LBB16_117:
                                        ; implicit-def: $vgpr8_vgpr9_vgpr10_vgpr11_vgpr12_vgpr13_vgpr14_vgpr15
.LBB16_118:
	v_mad_u64_u32 v[8:9], s[6:7], s18, v19, 0
	v_mad_u64_u32 v[9:10], s[6:7], s19, v19, v[9:10]
	v_lshlrev_b64 v[8:9], 2, v[8:9]
	v_add_co_u32_e32 v8, vcc, v17, v8
	v_addc_co_u32_e32 v9, vcc, v18, v9, vcc
	global_load_dword v8, v[8:9], off offset:768
	s_waitcnt vmcnt(0)
	v_cmp_neq_f32_e32 vcc, 0, v8
	v_cndmask_b32_e64 v8, 0, 1, vcc
	v_add_co_u32_e32 v6, vcc, v6, v8
	v_addc_co_u32_e32 v7, vcc, 0, v7, vcc
	v_mov_b32_e32 v15, v7
	v_mov_b32_e32 v14, v6
	v_mov_b32_e32 v13, v5
	v_mov_b32_e32 v12, v4
	v_mov_b32_e32 v11, v3
	v_mov_b32_e32 v10, v2
	v_mov_b32_e32 v9, v1
	v_mov_b32_e32 v8, v0
.LBB16_119:
	v_mov_b32_e32 v0, v8
	v_mov_b32_e32 v1, v9
	v_mov_b32_e32 v2, v10
	v_mov_b32_e32 v3, v11
	v_mov_b32_e32 v4, v12
	v_mov_b32_e32 v5, v13
	v_mov_b32_e32 v6, v14
	v_mov_b32_e32 v7, v15
.LBB16_120:
	s_or_b64 exec, exec, s[4:5]
	v_or_b32_e32 v19, 2, v16
	v_cmp_gt_i32_e32 vcc, s14, v19
	s_and_saveexec_b64 s[4:5], vcc
	s_cbranch_execz .LBB16_126
; %bb.121:
	s_and_b64 vcc, exec, s[0:1]
	s_cbranch_vccnz .LBB16_123
; %bb.122:
	global_load_dword v24, v[20:21], off offset:8
	v_mov_b32_e32 v15, v7
	v_mov_b32_e32 v14, v6
	v_mov_b32_e32 v13, v5
	v_mov_b32_e32 v12, v4
	v_mov_b32_e32 v11, v3
	v_mov_b32_e32 v10, v2
	v_mov_b32_e32 v9, v1
	v_mov_b32_e32 v8, v0
	s_waitcnt vmcnt(0)
	v_cmp_neq_f32_e32 vcc, 0, v24
	v_cndmask_b32_e64 v14, 0, 1, vcc
	v_add_co_u32_e32 v14, vcc, v6, v14
	v_addc_co_u32_e32 v15, vcc, 0, v7, vcc
	s_cbranch_execz .LBB16_124
	s_branch .LBB16_125
.LBB16_123:
                                        ; implicit-def: $vgpr8_vgpr9_vgpr10_vgpr11_vgpr12_vgpr13_vgpr14_vgpr15
.LBB16_124:
	v_mad_u64_u32 v[8:9], s[6:7], s18, v19, 0
	v_mad_u64_u32 v[9:10], s[6:7], s19, v19, v[9:10]
	v_lshlrev_b64 v[8:9], 2, v[8:9]
	v_add_co_u32_e32 v8, vcc, v17, v8
	v_addc_co_u32_e32 v9, vcc, v18, v9, vcc
	global_load_dword v8, v[8:9], off offset:768
	s_waitcnt vmcnt(0)
	v_cmp_neq_f32_e32 vcc, 0, v8
	v_cndmask_b32_e64 v8, 0, 1, vcc
	v_add_co_u32_e32 v6, vcc, v6, v8
	v_addc_co_u32_e32 v7, vcc, 0, v7, vcc
	v_mov_b32_e32 v15, v7
	v_mov_b32_e32 v14, v6
	v_mov_b32_e32 v13, v5
	v_mov_b32_e32 v12, v4
	v_mov_b32_e32 v11, v3
	v_mov_b32_e32 v10, v2
	v_mov_b32_e32 v9, v1
	v_mov_b32_e32 v8, v0
.LBB16_125:
	v_mov_b32_e32 v0, v8
	v_mov_b32_e32 v1, v9
	v_mov_b32_e32 v2, v10
	v_mov_b32_e32 v3, v11
	v_mov_b32_e32 v4, v12
	v_mov_b32_e32 v5, v13
	v_mov_b32_e32 v6, v14
	v_mov_b32_e32 v7, v15
.LBB16_126:
	;; [unrolled: 57-line block ×3, first 2 shown]
	s_or_b64 exec, exec, s[4:5]
.LBB16_133:
	s_or_b64 exec, exec, s[2:3]
.LBB16_134:
	v_lshlrev_b32_e32 v8, 5, v22
	v_lshlrev_b32_e32 v9, 3, v23
	s_movk_i32 s0, 0xf800
	v_and_or_b32 v8, v8, s0, v9
	s_movk_i32 s0, 0x100
	v_cmp_gt_u32_e32 vcc, s0, v22
	ds_write2st64_b64 v8, v[0:1], v[2:3] offset1:1
	ds_write2st64_b64 v8, v[4:5], v[6:7] offset0:2 offset1:3
	s_waitcnt lgkmcnt(0)
	s_barrier
	s_and_saveexec_b64 s[0:1], vcc
	s_cbranch_execz .LBB16_137
; %bb.135:
	v_lshlrev_b32_e32 v9, 3, v22
	ds_read2st64_b64 v[1:4], v9 offset1:4
	ds_read2st64_b64 v[5:8], v9 offset0:8 offset1:12
	v_add_u32_e32 v0, s15, v22
	s_waitcnt lgkmcnt(1)
	v_add_co_u32_e32 v1, vcc, v1, v3
	v_addc_co_u32_e32 v2, vcc, v2, v4, vcc
	s_waitcnt lgkmcnt(0)
	v_add_co_u32_e32 v5, vcc, v1, v5
	v_addc_co_u32_e32 v6, vcc, v2, v6, vcc
	ds_read2st64_b64 v[1:4], v9 offset0:16 offset1:20
	v_add_co_u32_e32 v5, vcc, v5, v7
	v_addc_co_u32_e32 v6, vcc, v6, v8, vcc
	s_waitcnt lgkmcnt(0)
	v_add_co_u32_e32 v1, vcc, v5, v1
	v_addc_co_u32_e32 v2, vcc, v6, v2, vcc
	ds_read2st64_b64 v[5:8], v9 offset0:24 offset1:28
	;; [unrolled: 6-line block ×6, first 2 shown]
	v_add_co_u32_e32 v1, vcc, v1, v3
	v_addc_co_u32_e32 v2, vcc, v2, v4, vcc
	s_waitcnt lgkmcnt(0)
	v_add_co_u32_e32 v1, vcc, v1, v5
	v_addc_co_u32_e32 v3, vcc, v2, v6, vcc
	v_add_co_u32_e32 v2, vcc, v1, v7
	v_addc_co_u32_e32 v3, vcc, v3, v8, vcc
	v_cmp_gt_i32_e32 vcc, s13, v0
	ds_write_b64 v9, v[2:3]
	s_and_b64 exec, exec, vcc
	s_cbranch_execz .LBB16_137
; %bb.136:
	v_ashrrev_i32_e32 v1, 31, v0
	v_lshlrev_b64 v[0:1], 3, v[0:1]
	v_mov_b32_e32 v4, s21
	v_add_co_u32_e32 v0, vcc, s20, v0
	v_addc_co_u32_e32 v1, vcc, v4, v1, vcc
	global_store_dwordx2 v[0:1], v[2:3], off
.LBB16_137:
	s_endpgm
	.section	.rodata,"a",@progbits
	.p2align	6, 0x0
	.amdhsa_kernel _ZN9rocsparseL14nnz_kernel_rowILi64ELi16ElifEEv16rocsparse_order_T2_S2_PKT3_lPT1_
		.amdhsa_group_segment_fixed_size 32768
		.amdhsa_private_segment_fixed_size 0
		.amdhsa_kernarg_size 296
		.amdhsa_user_sgpr_count 6
		.amdhsa_user_sgpr_private_segment_buffer 1
		.amdhsa_user_sgpr_dispatch_ptr 0
		.amdhsa_user_sgpr_queue_ptr 0
		.amdhsa_user_sgpr_kernarg_segment_ptr 1
		.amdhsa_user_sgpr_dispatch_id 0
		.amdhsa_user_sgpr_flat_scratch_init 0
		.amdhsa_user_sgpr_private_segment_size 0
		.amdhsa_uses_dynamic_stack 0
		.amdhsa_system_sgpr_private_segment_wavefront_offset 0
		.amdhsa_system_sgpr_workgroup_id_x 1
		.amdhsa_system_sgpr_workgroup_id_y 0
		.amdhsa_system_sgpr_workgroup_id_z 0
		.amdhsa_system_sgpr_workgroup_info 0
		.amdhsa_system_vgpr_workitem_id 1
		.amdhsa_next_free_vgpr 37
		.amdhsa_next_free_sgpr 61
		.amdhsa_reserve_vcc 1
		.amdhsa_reserve_flat_scratch 0
		.amdhsa_float_round_mode_32 0
		.amdhsa_float_round_mode_16_64 0
		.amdhsa_float_denorm_mode_32 3
		.amdhsa_float_denorm_mode_16_64 3
		.amdhsa_dx10_clamp 1
		.amdhsa_ieee_mode 1
		.amdhsa_fp16_overflow 0
		.amdhsa_exception_fp_ieee_invalid_op 0
		.amdhsa_exception_fp_denorm_src 0
		.amdhsa_exception_fp_ieee_div_zero 0
		.amdhsa_exception_fp_ieee_overflow 0
		.amdhsa_exception_fp_ieee_underflow 0
		.amdhsa_exception_fp_ieee_inexact 0
		.amdhsa_exception_int_div_zero 0
	.end_amdhsa_kernel
	.section	.text._ZN9rocsparseL14nnz_kernel_rowILi64ELi16ElifEEv16rocsparse_order_T2_S2_PKT3_lPT1_,"axG",@progbits,_ZN9rocsparseL14nnz_kernel_rowILi64ELi16ElifEEv16rocsparse_order_T2_S2_PKT3_lPT1_,comdat
.Lfunc_end16:
	.size	_ZN9rocsparseL14nnz_kernel_rowILi64ELi16ElifEEv16rocsparse_order_T2_S2_PKT3_lPT1_, .Lfunc_end16-_ZN9rocsparseL14nnz_kernel_rowILi64ELi16ElifEEv16rocsparse_order_T2_S2_PKT3_lPT1_
                                        ; -- End function
	.set _ZN9rocsparseL14nnz_kernel_rowILi64ELi16ElifEEv16rocsparse_order_T2_S2_PKT3_lPT1_.num_vgpr, 37
	.set _ZN9rocsparseL14nnz_kernel_rowILi64ELi16ElifEEv16rocsparse_order_T2_S2_PKT3_lPT1_.num_agpr, 0
	.set _ZN9rocsparseL14nnz_kernel_rowILi64ELi16ElifEEv16rocsparse_order_T2_S2_PKT3_lPT1_.numbered_sgpr, 34
	.set _ZN9rocsparseL14nnz_kernel_rowILi64ELi16ElifEEv16rocsparse_order_T2_S2_PKT3_lPT1_.num_named_barrier, 0
	.set _ZN9rocsparseL14nnz_kernel_rowILi64ELi16ElifEEv16rocsparse_order_T2_S2_PKT3_lPT1_.private_seg_size, 0
	.set _ZN9rocsparseL14nnz_kernel_rowILi64ELi16ElifEEv16rocsparse_order_T2_S2_PKT3_lPT1_.uses_vcc, 1
	.set _ZN9rocsparseL14nnz_kernel_rowILi64ELi16ElifEEv16rocsparse_order_T2_S2_PKT3_lPT1_.uses_flat_scratch, 0
	.set _ZN9rocsparseL14nnz_kernel_rowILi64ELi16ElifEEv16rocsparse_order_T2_S2_PKT3_lPT1_.has_dyn_sized_stack, 0
	.set _ZN9rocsparseL14nnz_kernel_rowILi64ELi16ElifEEv16rocsparse_order_T2_S2_PKT3_lPT1_.has_recursion, 0
	.set _ZN9rocsparseL14nnz_kernel_rowILi64ELi16ElifEEv16rocsparse_order_T2_S2_PKT3_lPT1_.has_indirect_call, 0
	.section	.AMDGPU.csdata,"",@progbits
; Kernel info:
; codeLenInByte = 6960
; TotalNumSgprs: 38
; NumVgprs: 37
; ScratchSize: 0
; MemoryBound: 0
; FloatMode: 240
; IeeeMode: 1
; LDSByteSize: 32768 bytes/workgroup (compile time only)
; SGPRBlocks: 8
; VGPRBlocks: 9
; NumSGPRsForWavesPerEU: 65
; NumVGPRsForWavesPerEU: 37
; Occupancy: 6
; WaveLimiterHint : 0
; COMPUTE_PGM_RSRC2:SCRATCH_EN: 0
; COMPUTE_PGM_RSRC2:USER_SGPR: 6
; COMPUTE_PGM_RSRC2:TRAP_HANDLER: 0
; COMPUTE_PGM_RSRC2:TGID_X_EN: 1
; COMPUTE_PGM_RSRC2:TGID_Y_EN: 0
; COMPUTE_PGM_RSRC2:TGID_Z_EN: 0
; COMPUTE_PGM_RSRC2:TIDIG_COMP_CNT: 1
	.section	.text._ZN9rocsparseL14nnz_kernel_colILi256ElifEEv16rocsparse_order_T1_S2_PKT2_lPT0_,"axG",@progbits,_ZN9rocsparseL14nnz_kernel_colILi256ElifEEv16rocsparse_order_T1_S2_PKT2_lPT0_,comdat
	.globl	_ZN9rocsparseL14nnz_kernel_colILi256ElifEEv16rocsparse_order_T1_S2_PKT2_lPT0_ ; -- Begin function _ZN9rocsparseL14nnz_kernel_colILi256ElifEEv16rocsparse_order_T1_S2_PKT2_lPT0_
	.p2align	8
	.type	_ZN9rocsparseL14nnz_kernel_colILi256ElifEEv16rocsparse_order_T1_S2_PKT2_lPT0_,@function
_ZN9rocsparseL14nnz_kernel_colILi256ElifEEv16rocsparse_order_T1_S2_PKT2_lPT0_: ; @_ZN9rocsparseL14nnz_kernel_colILi256ElifEEv16rocsparse_order_T1_S2_PKT2_lPT0_
; %bb.0:
	s_load_dwordx2 s[8:9], s[4:5], 0x0
	s_load_dwordx4 s[0:3], s[4:5], 0x10
	s_waitcnt lgkmcnt(0)
	s_ashr_i32 s7, s9, 31
	s_lshr_b32 s7, s7, 24
	s_add_i32 s7, s9, s7
	s_and_b32 s10, s7, 0xffffff00
	s_cmp_eq_u32 s8, 1
	s_cbranch_scc1 .LBB17_6
; %bb.1:
	v_mov_b32_e32 v1, 0
	v_mov_b32_e32 v2, 0
	s_cmpk_lt_i32 s9, 0x100
	s_cbranch_scc1 .LBB17_7
; %bb.2:
	v_mad_u64_u32 v[1:2], s[12:13], s2, v0, 0
	s_ashr_i32 s7, s6, 31
	v_mad_u64_u32 v[2:3], s[12:13], s3, v0, v[2:3]
	s_lshl_b64 s[12:13], s[6:7], 2
	s_add_u32 s7, s0, s12
	v_lshlrev_b64 v[1:2], 2, v[1:2]
	s_addc_u32 s8, s1, s13
	v_mov_b32_e32 v4, s8
	v_add_co_u32_e32 v3, vcc, s7, v1
	v_addc_co_u32_e32 v4, vcc, v4, v2, vcc
	s_lshl_b64 s[12:13], s[2:3], 10
	v_mov_b32_e32 v1, 0
	v_mov_b32_e32 v2, 0
	s_mov_b32 s7, 0
	v_mov_b32_e32 v5, s13
	s_branch .LBB17_4
.LBB17_3:                               ;   in Loop: Header=BB17_4 Depth=1
	s_or_b64 exec, exec, s[14:15]
	s_addk_i32 s7, 0x100
	v_add_co_u32_e32 v3, vcc, s12, v3
	s_cmp_ge_i32 s7, s10
	v_addc_co_u32_e32 v4, vcc, v4, v5, vcc
	s_cbranch_scc1 .LBB17_7
.LBB17_4:                               ; =>This Inner Loop Header: Depth=1
	v_add_u32_e32 v6, s7, v0
	v_cmp_gt_i32_e32 vcc, s9, v6
	s_and_saveexec_b64 s[14:15], vcc
	s_cbranch_execz .LBB17_3
; %bb.5:                                ;   in Loop: Header=BB17_4 Depth=1
	global_load_dword v6, v[3:4], off
	s_waitcnt vmcnt(0)
	v_cmp_neq_f32_e32 vcc, 0, v6
	v_cndmask_b32_e64 v6, 0, 1, vcc
	v_add_co_u32_e32 v1, vcc, v1, v6
	v_addc_co_u32_e32 v2, vcc, 0, v2, vcc
	s_branch .LBB17_3
.LBB17_6:
                                        ; implicit-def: $vgpr1_vgpr2
	s_load_dwordx2 s[4:5], s[4:5], 0x20
	s_cbranch_execnz .LBB17_10
	s_branch .LBB17_16
.LBB17_7:
	v_add_u32_e32 v3, s10, v0
	v_cmp_gt_i32_e32 vcc, s9, v3
	s_and_saveexec_b64 s[12:13], vcc
	s_cbranch_execz .LBB17_9
; %bb.8:
	v_ashrrev_i32_e32 v4, 31, v3
	v_mul_lo_u32 v5, s3, v3
	v_mul_lo_u32 v6, s2, v4
	v_mad_u64_u32 v[3:4], s[14:15], s2, v3, 0
	s_ashr_i32 s7, s6, 31
	s_lshl_b64 s[14:15], s[6:7], 2
	v_add3_u32 v4, v4, v6, v5
	v_lshlrev_b64 v[3:4], 2, v[3:4]
	v_mov_b32_e32 v5, s1
	v_add_co_u32_e32 v3, vcc, s0, v3
	v_addc_co_u32_e32 v4, vcc, v5, v4, vcc
	v_mov_b32_e32 v5, s15
	v_add_co_u32_e32 v3, vcc, s14, v3
	v_addc_co_u32_e32 v4, vcc, v4, v5, vcc
	global_load_dword v3, v[3:4], off
	s_waitcnt vmcnt(0)
	v_cmp_neq_f32_e32 vcc, 0, v3
	v_cndmask_b32_e64 v3, 0, 1, vcc
	v_add_co_u32_e32 v1, vcc, v1, v3
	v_addc_co_u32_e32 v2, vcc, 0, v2, vcc
.LBB17_9:
	s_or_b64 exec, exec, s[12:13]
	s_load_dwordx2 s[4:5], s[4:5], 0x20
	s_branch .LBB17_16
.LBB17_10:
	s_ashr_i32 s7, s6, 31
	s_mul_hi_u32 s8, s2, s6
	s_mul_i32 s7, s2, s7
	s_add_i32 s7, s8, s7
	s_mul_i32 s3, s3, s6
	s_add_i32 s13, s7, s3
	s_mul_i32 s12, s2, s6
	v_cmp_gt_i32_e32 vcc, s9, v0
	s_lshl_b64 s[12:13], s[12:13], 2
	v_cndmask_b32_e32 v1, 0, v0, vcc
	s_add_u32 s0, s0, s12
	s_addc_u32 s1, s1, s13
	v_lshlrev_b32_e32 v3, 2, v1
	v_mov_b32_e32 v4, s1
	v_mov_b32_e32 v1, 0
	v_add_co_u32_e32 v3, vcc, s0, v3
	s_mov_b32 s2, 0
	v_mov_b32_e32 v2, 0
	s_cmpk_lt_i32 s9, 0x100
	v_addc_co_u32_e32 v4, vcc, 0, v4, vcc
	s_cbranch_scc1 .LBB17_13
; %bb.11:
	v_mov_b32_e32 v1, 0
	v_mov_b32_e32 v6, v4
	;; [unrolled: 1-line block ×4, first 2 shown]
.LBB17_12:                              ; =>This Inner Loop Header: Depth=1
	global_load_dword v7, v[5:6], off
	v_add_co_u32_e32 v5, vcc, 0x400, v5
	v_addc_co_u32_e32 v6, vcc, 0, v6, vcc
	s_addk_i32 s2, 0x100
	s_cmp_ge_i32 s2, s10
	s_waitcnt vmcnt(0)
	v_cmp_neq_f32_e32 vcc, 0, v7
	v_cndmask_b32_e64 v7, 0, 1, vcc
	v_add_co_u32_e32 v1, vcc, v1, v7
	v_addc_co_u32_e32 v2, vcc, 0, v2, vcc
	s_cbranch_scc0 .LBB17_12
.LBB17_13:
	v_add_u32_e32 v5, s10, v0
	v_cmp_gt_i32_e32 vcc, s9, v5
	s_and_saveexec_b64 s[0:1], vcc
	s_cbranch_execz .LBB17_15
; %bb.14:
	s_ashr_i32 s11, s10, 31
	s_lshl_b64 s[2:3], s[10:11], 2
	v_mov_b32_e32 v5, s3
	v_add_co_u32_e32 v3, vcc, s2, v3
	v_addc_co_u32_e32 v4, vcc, v4, v5, vcc
	global_load_dword v3, v[3:4], off
	s_waitcnt vmcnt(0)
	v_cmp_neq_f32_e32 vcc, 0, v3
	v_cndmask_b32_e64 v3, 0, 1, vcc
	v_add_co_u32_e32 v1, vcc, v1, v3
	v_addc_co_u32_e32 v2, vcc, 0, v2, vcc
.LBB17_15:
	s_or_b64 exec, exec, s[0:1]
.LBB17_16:
	v_lshlrev_b32_e32 v3, 3, v0
	s_cmpk_lt_i32 s9, 0x100
	s_mov_b64 s[0:1], -1
	v_cmp_eq_u32_e32 vcc, 0, v0
	ds_write_b64 v3, v[1:2]
	s_waitcnt lgkmcnt(0)
	s_cbranch_scc1 .LBB17_20
; %bb.17:
	s_and_b64 vcc, exec, s[0:1]
	s_cbranch_vccnz .LBB17_30
.LBB17_18:
	v_cmp_eq_u32_e32 vcc, 0, v0
	s_and_saveexec_b64 s[0:1], vcc
	s_cbranch_execnz .LBB17_47
.LBB17_19:
	s_endpgm
.LBB17_20:
	s_cmp_gt_i32 s9, 1
	s_cselect_b64 s[0:1], -1, 0
	s_mov_b32 s3, 1
	s_and_b64 s[10:11], vcc, s[0:1]
	s_barrier
	s_and_saveexec_b64 s[0:1], s[10:11]
	s_cbranch_execz .LBB17_29
; %bb.21:
	v_mov_b32_e32 v1, 0
	ds_read_b64 v[1:2], v1
	s_add_i32 s2, s9, -1
	s_add_i32 s7, s9, -2
	s_cmp_lt_u32 s7, 7
	s_cbranch_scc1 .LBB17_25
; %bb.22:
	s_and_b32 s3, s2, -8
	s_mov_b32 s8, 0
	s_mov_b32 s7, 8
.LBB17_23:                              ; =>This Inner Loop Header: Depth=1
	v_mov_b32_e32 v16, s7
	ds_read2_b64 v[4:7], v16 offset1:1
	ds_read2_b64 v[8:11], v16 offset0:2 offset1:3
	ds_read2_b64 v[12:15], v16 offset0:4 offset1:5
	;; [unrolled: 1-line block ×3, first 2 shown]
	s_mov_b32 s9, s8
	s_waitcnt lgkmcnt(3)
	v_add_co_u32_e32 v1, vcc, v1, v4
	v_addc_co_u32_e32 v2, vcc, v2, v5, vcc
	v_add_co_u32_e32 v1, vcc, v1, v6
	v_addc_co_u32_e32 v2, vcc, v2, v7, vcc
	s_waitcnt lgkmcnt(2)
	v_add_co_u32_e32 v1, vcc, v1, v8
	v_addc_co_u32_e32 v2, vcc, v2, v9, vcc
	v_add_co_u32_e32 v1, vcc, v1, v10
	v_addc_co_u32_e32 v2, vcc, v2, v11, vcc
	;; [unrolled: 5-line block ×3, first 2 shown]
	s_waitcnt lgkmcnt(0)
	v_add_co_u32_e32 v1, vcc, v1, v16
	v_addc_co_u32_e32 v2, vcc, v2, v17, vcc
	s_add_i32 s7, s7, 64
	s_add_i32 s8, s8, 8
	v_add_co_u32_e32 v1, vcc, v1, v18
	s_cmp_lg_u32 s3, s8
	v_addc_co_u32_e32 v2, vcc, v2, v19, vcc
	s_cbranch_scc1 .LBB17_23
; %bb.24:
	s_add_i32 s3, s9, 9
.LBB17_25:
	s_and_b32 s2, s2, 7
	s_cmp_eq_u32 s2, 0
	s_cbranch_scc1 .LBB17_28
; %bb.26:
	s_lshl_b32 s3, s3, 3
.LBB17_27:                              ; =>This Inner Loop Header: Depth=1
	v_mov_b32_e32 v4, s3
	ds_read_b64 v[4:5], v4
	s_add_i32 s3, s3, 8
	s_add_i32 s2, s2, -1
	s_cmp_lg_u32 s2, 0
	s_waitcnt lgkmcnt(0)
	v_add_co_u32_e32 v1, vcc, v1, v4
	v_addc_co_u32_e32 v2, vcc, v2, v5, vcc
	s_cbranch_scc1 .LBB17_27
.LBB17_28:
	v_mov_b32_e32 v4, 0
	s_waitcnt lgkmcnt(0)
	ds_write_b64 v4, v[1:2]
.LBB17_29:
	s_or_b64 exec, exec, s[0:1]
	s_waitcnt lgkmcnt(0)
	s_barrier
	s_branch .LBB17_18
.LBB17_30:
	s_movk_i32 s0, 0x80
	v_cmp_gt_u32_e32 vcc, s0, v0
	s_barrier
	s_and_saveexec_b64 s[0:1], vcc
	s_cbranch_execz .LBB17_32
; %bb.31:
	ds_read2st64_b64 v[4:7], v3 offset1:2
	s_waitcnt lgkmcnt(0)
	v_add_co_u32_e32 v1, vcc, v4, v6
	v_addc_co_u32_e32 v2, vcc, v5, v7, vcc
	ds_write_b64 v3, v[1:2]
.LBB17_32:
	s_or_b64 exec, exec, s[0:1]
	v_cmp_gt_u32_e32 vcc, 64, v0
	s_waitcnt lgkmcnt(0)
	s_barrier
	s_and_saveexec_b64 s[0:1], vcc
	s_cbranch_execz .LBB17_34
; %bb.33:
	ds_read2st64_b64 v[4:7], v3 offset1:1
	s_waitcnt lgkmcnt(0)
	v_add_co_u32_e32 v1, vcc, v4, v6
	v_addc_co_u32_e32 v2, vcc, v5, v7, vcc
	ds_write_b64 v3, v[1:2]
.LBB17_34:
	s_or_b64 exec, exec, s[0:1]
	v_cmp_gt_u32_e32 vcc, 32, v0
	s_waitcnt lgkmcnt(0)
	s_barrier
	s_and_saveexec_b64 s[0:1], vcc
	s_cbranch_execz .LBB17_36
; %bb.35:
	ds_read2_b64 v[4:7], v3 offset1:32
	s_waitcnt lgkmcnt(0)
	v_add_co_u32_e32 v1, vcc, v4, v6
	v_addc_co_u32_e32 v2, vcc, v5, v7, vcc
	ds_write_b64 v3, v[1:2]
.LBB17_36:
	s_or_b64 exec, exec, s[0:1]
	v_cmp_gt_u32_e32 vcc, 16, v0
	s_waitcnt lgkmcnt(0)
	s_barrier
	s_and_saveexec_b64 s[0:1], vcc
	s_cbranch_execz .LBB17_38
; %bb.37:
	ds_read2_b64 v[4:7], v3 offset1:16
	s_waitcnt lgkmcnt(0)
	v_add_co_u32_e32 v1, vcc, v4, v6
	v_addc_co_u32_e32 v2, vcc, v5, v7, vcc
	ds_write_b64 v3, v[1:2]
.LBB17_38:
	;; [unrolled: 13-line block ×5, first 2 shown]
	s_or_b64 exec, exec, s[0:1]
	v_cmp_eq_u32_e32 vcc, 0, v0
	s_waitcnt lgkmcnt(0)
	s_barrier
	s_and_saveexec_b64 s[0:1], vcc
	s_cbranch_execz .LBB17_46
; %bb.45:
	v_mov_b32_e32 v5, 0
	ds_read_b128 v[1:4], v5
	s_waitcnt lgkmcnt(0)
	v_add_co_u32_e32 v1, vcc, v1, v3
	v_addc_co_u32_e32 v2, vcc, v2, v4, vcc
	ds_write_b64 v5, v[1:2]
.LBB17_46:
	s_or_b64 exec, exec, s[0:1]
	s_waitcnt lgkmcnt(0)
	s_barrier
	v_cmp_eq_u32_e32 vcc, 0, v0
	s_and_saveexec_b64 s[0:1], vcc
	s_cbranch_execz .LBB17_19
.LBB17_47:
	v_mov_b32_e32 v2, 0
	ds_read_b64 v[0:1], v2
	s_ashr_i32 s7, s6, 31
	s_lshl_b64 s[0:1], s[6:7], 3
	s_add_u32 s0, s4, s0
	s_addc_u32 s1, s5, s1
	s_waitcnt lgkmcnt(0)
	global_store_dwordx2 v2, v[0:1], s[0:1]
	s_endpgm
	.section	.rodata,"a",@progbits
	.p2align	6, 0x0
	.amdhsa_kernel _ZN9rocsparseL14nnz_kernel_colILi256ElifEEv16rocsparse_order_T1_S2_PKT2_lPT0_
		.amdhsa_group_segment_fixed_size 2048
		.amdhsa_private_segment_fixed_size 0
		.amdhsa_kernarg_size 40
		.amdhsa_user_sgpr_count 6
		.amdhsa_user_sgpr_private_segment_buffer 1
		.amdhsa_user_sgpr_dispatch_ptr 0
		.amdhsa_user_sgpr_queue_ptr 0
		.amdhsa_user_sgpr_kernarg_segment_ptr 1
		.amdhsa_user_sgpr_dispatch_id 0
		.amdhsa_user_sgpr_flat_scratch_init 0
		.amdhsa_user_sgpr_private_segment_size 0
		.amdhsa_uses_dynamic_stack 0
		.amdhsa_system_sgpr_private_segment_wavefront_offset 0
		.amdhsa_system_sgpr_workgroup_id_x 1
		.amdhsa_system_sgpr_workgroup_id_y 0
		.amdhsa_system_sgpr_workgroup_id_z 0
		.amdhsa_system_sgpr_workgroup_info 0
		.amdhsa_system_vgpr_workitem_id 0
		.amdhsa_next_free_vgpr 20
		.amdhsa_next_free_sgpr 16
		.amdhsa_reserve_vcc 1
		.amdhsa_reserve_flat_scratch 0
		.amdhsa_float_round_mode_32 0
		.amdhsa_float_round_mode_16_64 0
		.amdhsa_float_denorm_mode_32 3
		.amdhsa_float_denorm_mode_16_64 3
		.amdhsa_dx10_clamp 1
		.amdhsa_ieee_mode 1
		.amdhsa_fp16_overflow 0
		.amdhsa_exception_fp_ieee_invalid_op 0
		.amdhsa_exception_fp_denorm_src 0
		.amdhsa_exception_fp_ieee_div_zero 0
		.amdhsa_exception_fp_ieee_overflow 0
		.amdhsa_exception_fp_ieee_underflow 0
		.amdhsa_exception_fp_ieee_inexact 0
		.amdhsa_exception_int_div_zero 0
	.end_amdhsa_kernel
	.section	.text._ZN9rocsparseL14nnz_kernel_colILi256ElifEEv16rocsparse_order_T1_S2_PKT2_lPT0_,"axG",@progbits,_ZN9rocsparseL14nnz_kernel_colILi256ElifEEv16rocsparse_order_T1_S2_PKT2_lPT0_,comdat
.Lfunc_end17:
	.size	_ZN9rocsparseL14nnz_kernel_colILi256ElifEEv16rocsparse_order_T1_S2_PKT2_lPT0_, .Lfunc_end17-_ZN9rocsparseL14nnz_kernel_colILi256ElifEEv16rocsparse_order_T1_S2_PKT2_lPT0_
                                        ; -- End function
	.set _ZN9rocsparseL14nnz_kernel_colILi256ElifEEv16rocsparse_order_T1_S2_PKT2_lPT0_.num_vgpr, 20
	.set _ZN9rocsparseL14nnz_kernel_colILi256ElifEEv16rocsparse_order_T1_S2_PKT2_lPT0_.num_agpr, 0
	.set _ZN9rocsparseL14nnz_kernel_colILi256ElifEEv16rocsparse_order_T1_S2_PKT2_lPT0_.numbered_sgpr, 16
	.set _ZN9rocsparseL14nnz_kernel_colILi256ElifEEv16rocsparse_order_T1_S2_PKT2_lPT0_.num_named_barrier, 0
	.set _ZN9rocsparseL14nnz_kernel_colILi256ElifEEv16rocsparse_order_T1_S2_PKT2_lPT0_.private_seg_size, 0
	.set _ZN9rocsparseL14nnz_kernel_colILi256ElifEEv16rocsparse_order_T1_S2_PKT2_lPT0_.uses_vcc, 1
	.set _ZN9rocsparseL14nnz_kernel_colILi256ElifEEv16rocsparse_order_T1_S2_PKT2_lPT0_.uses_flat_scratch, 0
	.set _ZN9rocsparseL14nnz_kernel_colILi256ElifEEv16rocsparse_order_T1_S2_PKT2_lPT0_.has_dyn_sized_stack, 0
	.set _ZN9rocsparseL14nnz_kernel_colILi256ElifEEv16rocsparse_order_T1_S2_PKT2_lPT0_.has_recursion, 0
	.set _ZN9rocsparseL14nnz_kernel_colILi256ElifEEv16rocsparse_order_T1_S2_PKT2_lPT0_.has_indirect_call, 0
	.section	.AMDGPU.csdata,"",@progbits
; Kernel info:
; codeLenInByte = 1436
; TotalNumSgprs: 20
; NumVgprs: 20
; ScratchSize: 0
; MemoryBound: 0
; FloatMode: 240
; IeeeMode: 1
; LDSByteSize: 2048 bytes/workgroup (compile time only)
; SGPRBlocks: 2
; VGPRBlocks: 4
; NumSGPRsForWavesPerEU: 20
; NumVGPRsForWavesPerEU: 20
; Occupancy: 10
; WaveLimiterHint : 0
; COMPUTE_PGM_RSRC2:SCRATCH_EN: 0
; COMPUTE_PGM_RSRC2:USER_SGPR: 6
; COMPUTE_PGM_RSRC2:TRAP_HANDLER: 0
; COMPUTE_PGM_RSRC2:TGID_X_EN: 1
; COMPUTE_PGM_RSRC2:TGID_Y_EN: 0
; COMPUTE_PGM_RSRC2:TGID_Z_EN: 0
; COMPUTE_PGM_RSRC2:TIDIG_COMP_CNT: 0
	.section	.text._ZN9rocsparseL14nnz_kernel_rowILi64ELi16ElidEEv16rocsparse_order_T2_S2_PKT3_lPT1_,"axG",@progbits,_ZN9rocsparseL14nnz_kernel_rowILi64ELi16ElidEEv16rocsparse_order_T2_S2_PKT3_lPT1_,comdat
	.globl	_ZN9rocsparseL14nnz_kernel_rowILi64ELi16ElidEEv16rocsparse_order_T2_S2_PKT3_lPT1_ ; -- Begin function _ZN9rocsparseL14nnz_kernel_rowILi64ELi16ElidEEv16rocsparse_order_T2_S2_PKT3_lPT1_
	.p2align	8
	.type	_ZN9rocsparseL14nnz_kernel_rowILi64ELi16ElidEEv16rocsparse_order_T2_S2_PKT3_lPT1_,@function
_ZN9rocsparseL14nnz_kernel_rowILi64ELi16ElidEEv16rocsparse_order_T2_S2_PKT3_lPT1_: ; @_ZN9rocsparseL14nnz_kernel_rowILi64ELi16ElidEEv16rocsparse_order_T2_S2_PKT3_lPT1_
; %bb.0:
	s_load_dword s0, s[4:5], 0x34
	s_load_dwordx2 s[10:11], s[4:5], 0x20
	s_load_dwordx8 s[12:19], s[4:5], 0x0
	s_waitcnt lgkmcnt(0)
	s_lshl_b32 s15, s6, 8
	s_and_b32 s0, s0, 0xffff
	v_mad_u32_u24 v22, v1, s0, v0
	s_ashr_i32 s0, s14, 31
	s_lshr_b32 s0, s0, 26
	v_and_b32_e32 v23, 63, v22
	s_add_i32 s33, s14, s0
	v_lshrrev_b32_e32 v0, 4, v22
	v_or_b32_e32 v18, s15, v23
	s_andn2_b32 s33, s33, 63
	v_and_b32_e32 v16, 0x7ffffc, v0
	v_mov_b32_e32 v0, 0
	v_cmp_gt_i32_e32 vcc, s33, v16
	v_mov_b32_e32 v1, v0
	v_mov_b32_e32 v2, v0
	;; [unrolled: 1-line block ×7, first 2 shown]
	v_or_b32_e32 v24, 64, v18
	s_and_saveexec_b64 s[20:21], vcc
	s_cbranch_execz .LBB18_28
; %bb.1:
	v_lshrrev_b32_e32 v1, 6, v22
	v_lshlrev_b32_e32 v13, 2, v1
	v_or_b32_e32 v4, 3, v13
	v_mad_u64_u32 v[2:3], s[0:1], s18, v4, 0
	v_or_b32_e32 v8, 2, v13
	v_add_u32_e32 v6, s15, v23
	v_mad_u64_u32 v[3:4], s[0:1], s19, v4, v[3:4]
	v_mad_u64_u32 v[4:5], s[0:1], s18, v8, 0
	;; [unrolled: 1-line block ×4, first 2 shown]
	v_mov_b32_e32 v9, s18
	v_mov_b32_e32 v10, s19
	v_mad_u64_u32 v[9:10], s[0:1], s18, v13, v[9:10]
	v_mov_b32_e32 v5, v8
	v_ashrrev_i32_e32 v7, 31, v6
	v_mov_b32_e32 v8, v10
	v_mad_u64_u32 v[13:14], s[0:1], s19, v13, v[8:9]
	v_mov_b32_e32 v8, v12
	v_mad_u64_u32 v[14:15], s[0:1], s19, v1, v[8:9]
	v_mov_b32_e32 v10, v13
	v_mul_lo_u32 v13, s18, v7
	v_lshlrev_b64 v[2:3], 3, v[2:3]
	v_lshlrev_b64 v[7:8], 3, v[6:7]
	v_mov_b32_e32 v12, v14
	v_add_co_u32_e32 v17, vcc, v2, v7
	v_addc_co_u32_e32 v19, vcc, v3, v8, vcc
	v_lshlrev_b64 v[2:3], 3, v[4:5]
	v_mad_u64_u32 v[4:5], s[0:1], s18, v6, 0
	v_add_co_u32_e32 v20, vcc, v2, v7
	v_addc_co_u32_e32 v21, vcc, v3, v8, vcc
	v_lshlrev_b64 v[2:3], 3, v[9:10]
	v_mul_lo_u32 v9, s19, v6
	v_add_co_u32_e32 v25, vcc, v2, v7
	v_addc_co_u32_e32 v26, vcc, v3, v8, vcc
	v_lshlrev_b64 v[2:3], 5, v[11:12]
	v_add3_u32 v5, v5, v13, v9
	v_add_co_u32_e32 v27, vcc, v2, v7
	v_add_u32_e32 v2, 64, v6
	v_addc_co_u32_e32 v28, vcc, v3, v8, vcc
	v_ashrrev_i32_e32 v3, 31, v2
	v_add_u32_e32 v7, 0x80, v6
	v_add_u32_e32 v6, 0xc0, v6
	v_mul_lo_u32 v11, s18, v3
	v_mul_lo_u32 v12, s19, v2
	v_mad_u64_u32 v[2:3], s[0:1], s18, v2, 0
	v_ashrrev_i32_e32 v9, 31, v6
	v_ashrrev_i32_e32 v8, 31, v7
	v_mul_lo_u32 v15, s18, v9
	v_mul_lo_u32 v29, s19, v6
	v_mad_u64_u32 v[9:10], s[0:1], s18, v6, 0
	v_mul_lo_u32 v13, s18, v8
	v_mul_lo_u32 v14, s19, v7
	v_mad_u64_u32 v[7:8], s[0:1], s18, v7, 0
	v_or_b32_e32 v6, 0x80, v18
	v_cmp_gt_i32_e64 s[0:1], s13, v6
	v_or_b32_e32 v6, 0xc0, v18
	v_lshlrev_b64 v[4:5], 3, v[4:5]
	v_add3_u32 v3, v3, v11, v12
	v_cmp_gt_i32_e64 s[2:3], s13, v6
	v_lshlrev_b32_e32 v6, 5, v1
	v_add3_u32 v10, v10, v15, v29
	v_add_co_u32_e32 v29, vcc, v4, v6
	v_lshlrev_b64 v[1:2], 3, v[2:3]
	v_addc_co_u32_e32 v30, vcc, 0, v5, vcc
	v_add3_u32 v8, v8, v13, v14
	v_add_co_u32_e32 v31, vcc, v1, v6
	v_addc_co_u32_e32 v32, vcc, 0, v2, vcc
	v_lshlrev_b64 v[1:2], 3, v[7:8]
	s_cmp_lg_u32 s12, 1
	v_add_co_u32_e32 v33, vcc, v1, v6
	v_addc_co_u32_e32 v34, vcc, 0, v2, vcc
	v_lshlrev_b64 v[1:2], 3, v[9:10]
	s_cselect_b64 s[22:23], -1, 0
	v_add_co_u32_e32 v35, vcc, v1, v6
	v_addc_co_u32_e32 v36, vcc, 0, v2, vcc
	v_cmp_gt_i32_e64 s[4:5], s13, v18
	v_cmp_gt_i32_e64 s[6:7], s13, v24
	s_lshl_b64 s[24:25], s[18:19], 9
	v_mov_b32_e32 v1, v0
	v_mov_b32_e32 v2, v0
	;; [unrolled: 1-line block ×7, first 2 shown]
	s_mov_b64 s[26:27], 0
	s_branch .LBB18_4
.LBB18_2:                               ;   in Loop: Header=BB18_4 Depth=1
	v_mov_b32_e32 v0, v8
	v_mov_b32_e32 v1, v9
	;; [unrolled: 1-line block ×8, first 2 shown]
.LBB18_3:                               ;   in Loop: Header=BB18_4 Depth=1
	s_or_b64 exec, exec, s[28:29]
	v_add_co_u32_e32 v29, vcc, 0x200, v29
	v_addc_co_u32_e32 v30, vcc, 0, v30, vcc
	v_mov_b32_e32 v8, s25
	v_add_co_u32_e32 v17, vcc, s24, v17
	v_addc_co_u32_e32 v19, vcc, v19, v8, vcc
	v_add_co_u32_e32 v31, vcc, 0x200, v31
	v_addc_co_u32_e32 v32, vcc, 0, v32, vcc
	;; [unrolled: 2-line block ×5, first 2 shown]
	v_add_co_u32_e32 v35, vcc, 0x200, v35
	v_add_u32_e32 v16, 64, v16
	v_addc_co_u32_e32 v36, vcc, 0, v36, vcc
	v_cmp_le_i32_e32 vcc, s33, v16
	s_or_b64 s[26:27], vcc, s[26:27]
	v_add_co_u32_e32 v27, vcc, s24, v27
	v_addc_co_u32_e32 v28, vcc, v28, v8, vcc
	s_andn2_b64 exec, exec, s[26:27]
	s_cbranch_execz .LBB18_27
.LBB18_4:                               ; =>This Inner Loop Header: Depth=1
	v_cndmask_b32_e64 v8, 0, 1, s[22:23]
	v_cmp_ne_u32_e64 s[8:9], 1, v8
	s_and_saveexec_b64 s[28:29], s[4:5]
	s_cbranch_execnz .LBB18_8
; %bb.5:                                ;   in Loop: Header=BB18_4 Depth=1
	s_or_b64 exec, exec, s[28:29]
	s_and_saveexec_b64 s[28:29], s[6:7]
	s_cbranch_execnz .LBB18_13
.LBB18_6:                               ;   in Loop: Header=BB18_4 Depth=1
	s_or_b64 exec, exec, s[28:29]
	s_and_saveexec_b64 s[28:29], s[0:1]
	s_cbranch_execnz .LBB18_18
.LBB18_7:                               ;   in Loop: Header=BB18_4 Depth=1
	s_or_b64 exec, exec, s[28:29]
	s_and_saveexec_b64 s[28:29], s[2:3]
	s_cbranch_execz .LBB18_3
	s_branch .LBB18_23
.LBB18_8:                               ;   in Loop: Header=BB18_4 Depth=1
	s_and_b64 vcc, exec, s[8:9]
	s_mov_b64 s[30:31], -1
                                        ; implicit-def: $vgpr8_vgpr9_vgpr10_vgpr11_vgpr12_vgpr13_vgpr14_vgpr15
	s_cbranch_vccnz .LBB18_10
; %bb.9:                                ;   in Loop: Header=BB18_4 Depth=1
	v_mov_b32_e32 v8, s17
	v_add_co_u32_e32 v12, vcc, s16, v29
	v_addc_co_u32_e32 v13, vcc, v8, v30, vcc
	global_load_dwordx4 v[8:11], v[12:13], off
	s_nop 0
	global_load_dwordx4 v[12:15], v[12:13], off offset:16
	v_add_co_u32_e32 v37, vcc, 1, v0
	v_addc_co_u32_e32 v38, vcc, 0, v1, vcc
	s_mov_b64 s[30:31], 0
	s_waitcnt vmcnt(1)
	v_cmp_neq_f64_e32 vcc, 0, v[8:9]
	v_cndmask_b32_e32 v9, v0, v37, vcc
	v_cndmask_b32_e32 v8, v1, v38, vcc
	v_add_co_u32_e32 v37, vcc, 1, v9
	v_addc_co_u32_e32 v38, vcc, 0, v8, vcc
	v_cmp_neq_f64_e32 vcc, 0, v[10:11]
	v_cndmask_b32_e32 v9, v9, v37, vcc
	v_cndmask_b32_e32 v8, v8, v38, vcc
	v_add_co_u32_e32 v10, vcc, 1, v9
	v_addc_co_u32_e32 v11, vcc, 0, v8, vcc
	s_waitcnt vmcnt(0)
	v_cmp_neq_f64_e32 vcc, 0, v[12:13]
	v_mov_b32_e32 v12, v4
	v_mov_b32_e32 v13, v5
	v_cndmask_b32_e32 v37, v9, v10, vcc
	v_cndmask_b32_e32 v8, v8, v11, vcc
	v_add_co_u32_e32 v38, vcc, 1, v37
	v_addc_co_u32_e32 v9, vcc, 0, v8, vcc
	v_cmp_neq_f64_e32 vcc, 0, v[14:15]
	v_mov_b32_e32 v10, v2
	v_mov_b32_e32 v11, v3
	v_mov_b32_e32 v14, v6
	v_mov_b32_e32 v15, v7
	v_cndmask_b32_e32 v9, v8, v9, vcc
	v_cndmask_b32_e32 v8, v37, v38, vcc
.LBB18_10:                              ;   in Loop: Header=BB18_4 Depth=1
	s_andn2_b64 vcc, exec, s[30:31]
	s_cbranch_vccnz .LBB18_12
; %bb.11:                               ;   in Loop: Header=BB18_4 Depth=1
	v_mov_b32_e32 v9, s17
	v_add_co_u32_e32 v8, vcc, s16, v27
	v_addc_co_u32_e32 v9, vcc, v9, v28, vcc
	global_load_dwordx2 v[8:9], v[8:9], off
	v_mov_b32_e32 v11, s17
	v_add_co_u32_e32 v10, vcc, s16, v25
	v_addc_co_u32_e32 v11, vcc, v11, v26, vcc
	global_load_dwordx2 v[10:11], v[10:11], off
	;; [unrolled: 4-line block ×4, first 2 shown]
	v_add_co_u32_e32 v37, vcc, 1, v0
	v_addc_co_u32_e32 v38, vcc, 0, v1, vcc
	s_waitcnt vmcnt(3)
	v_cmp_neq_f64_e32 vcc, 0, v[8:9]
	v_cndmask_b32_e32 v0, v0, v37, vcc
	v_cndmask_b32_e32 v1, v1, v38, vcc
	v_add_co_u32_e32 v8, vcc, 1, v0
	v_addc_co_u32_e32 v9, vcc, 0, v1, vcc
	s_waitcnt vmcnt(2)
	v_cmp_neq_f64_e32 vcc, 0, v[10:11]
	v_cndmask_b32_e32 v0, v0, v8, vcc
	v_cndmask_b32_e32 v1, v1, v9, vcc
	;; [unrolled: 6-line block ×4, first 2 shown]
	v_mov_b32_e32 v15, v7
	v_mov_b32_e32 v14, v6
	;; [unrolled: 1-line block ×8, first 2 shown]
.LBB18_12:                              ;   in Loop: Header=BB18_4 Depth=1
	v_mov_b32_e32 v0, v8
	v_mov_b32_e32 v1, v9
	;; [unrolled: 1-line block ×8, first 2 shown]
	s_or_b64 exec, exec, s[28:29]
	s_and_saveexec_b64 s[28:29], s[6:7]
	s_cbranch_execz .LBB18_6
.LBB18_13:                              ;   in Loop: Header=BB18_4 Depth=1
	s_and_b64 vcc, exec, s[8:9]
	s_mov_b64 s[30:31], -1
                                        ; implicit-def: $vgpr8_vgpr9_vgpr10_vgpr11_vgpr12_vgpr13_vgpr14_vgpr15
	s_cbranch_vccnz .LBB18_15
; %bb.14:                               ;   in Loop: Header=BB18_4 Depth=1
	v_mov_b32_e32 v8, s17
	v_add_co_u32_e32 v12, vcc, s16, v31
	v_addc_co_u32_e32 v13, vcc, v8, v32, vcc
	global_load_dwordx4 v[8:11], v[12:13], off
	s_nop 0
	global_load_dwordx4 v[12:15], v[12:13], off offset:16
	v_add_co_u32_e32 v37, vcc, 1, v2
	v_addc_co_u32_e32 v38, vcc, 0, v3, vcc
	s_mov_b64 s[30:31], 0
	s_waitcnt vmcnt(1)
	v_cmp_neq_f64_e32 vcc, 0, v[8:9]
	v_cndmask_b32_e32 v9, v2, v37, vcc
	v_cndmask_b32_e32 v8, v3, v38, vcc
	v_add_co_u32_e32 v37, vcc, 1, v9
	v_addc_co_u32_e32 v38, vcc, 0, v8, vcc
	v_cmp_neq_f64_e32 vcc, 0, v[10:11]
	v_cndmask_b32_e32 v9, v9, v37, vcc
	v_cndmask_b32_e32 v8, v8, v38, vcc
	v_add_co_u32_e32 v10, vcc, 1, v9
	v_addc_co_u32_e32 v11, vcc, 0, v8, vcc
	s_waitcnt vmcnt(0)
	v_cmp_neq_f64_e32 vcc, 0, v[12:13]
	v_mov_b32_e32 v12, v4
	v_mov_b32_e32 v13, v5
	v_cndmask_b32_e32 v10, v9, v10, vcc
	v_cndmask_b32_e32 v11, v8, v11, vcc
	v_add_co_u32_e32 v37, vcc, 1, v10
	v_addc_co_u32_e32 v38, vcc, 0, v11, vcc
	v_cmp_neq_f64_e32 vcc, 0, v[14:15]
	v_mov_b32_e32 v8, v0
	v_mov_b32_e32 v9, v1
	;; [unrolled: 1-line block ×4, first 2 shown]
	v_cndmask_b32_e32 v11, v11, v38, vcc
	v_cndmask_b32_e32 v10, v10, v37, vcc
.LBB18_15:                              ;   in Loop: Header=BB18_4 Depth=1
	s_andn2_b64 vcc, exec, s[30:31]
	s_cbranch_vccnz .LBB18_17
; %bb.16:                               ;   in Loop: Header=BB18_4 Depth=1
	v_mov_b32_e32 v9, s17
	v_add_co_u32_e32 v8, vcc, s16, v27
	v_addc_co_u32_e32 v9, vcc, v9, v28, vcc
	global_load_dwordx2 v[8:9], v[8:9], off offset:512
	v_mov_b32_e32 v11, s17
	v_add_co_u32_e32 v10, vcc, s16, v25
	v_addc_co_u32_e32 v11, vcc, v11, v26, vcc
	global_load_dwordx2 v[10:11], v[10:11], off offset:512
	;; [unrolled: 4-line block ×4, first 2 shown]
	v_add_co_u32_e32 v37, vcc, 1, v2
	v_addc_co_u32_e32 v38, vcc, 0, v3, vcc
	s_waitcnt vmcnt(3)
	v_cmp_neq_f64_e32 vcc, 0, v[8:9]
	v_cndmask_b32_e32 v2, v2, v37, vcc
	v_cndmask_b32_e32 v3, v3, v38, vcc
	v_add_co_u32_e32 v8, vcc, 1, v2
	v_addc_co_u32_e32 v9, vcc, 0, v3, vcc
	s_waitcnt vmcnt(2)
	v_cmp_neq_f64_e32 vcc, 0, v[10:11]
	v_cndmask_b32_e32 v2, v2, v8, vcc
	v_cndmask_b32_e32 v3, v3, v9, vcc
	;; [unrolled: 6-line block ×4, first 2 shown]
	v_mov_b32_e32 v15, v7
	v_mov_b32_e32 v14, v6
	;; [unrolled: 1-line block ×8, first 2 shown]
.LBB18_17:                              ;   in Loop: Header=BB18_4 Depth=1
	v_mov_b32_e32 v0, v8
	v_mov_b32_e32 v1, v9
	;; [unrolled: 1-line block ×8, first 2 shown]
	s_or_b64 exec, exec, s[28:29]
	s_and_saveexec_b64 s[28:29], s[0:1]
	s_cbranch_execz .LBB18_7
.LBB18_18:                              ;   in Loop: Header=BB18_4 Depth=1
	s_and_b64 vcc, exec, s[8:9]
	s_mov_b64 s[30:31], -1
                                        ; implicit-def: $vgpr8_vgpr9_vgpr10_vgpr11_vgpr12_vgpr13_vgpr14_vgpr15
	s_cbranch_vccnz .LBB18_20
; %bb.19:                               ;   in Loop: Header=BB18_4 Depth=1
	v_mov_b32_e32 v8, s17
	v_add_co_u32_e32 v12, vcc, s16, v33
	v_addc_co_u32_e32 v13, vcc, v8, v34, vcc
	global_load_dwordx4 v[8:11], v[12:13], off
	s_nop 0
	global_load_dwordx4 v[12:15], v[12:13], off offset:16
	v_add_co_u32_e32 v37, vcc, 1, v4
	v_addc_co_u32_e32 v38, vcc, 0, v5, vcc
	s_mov_b64 s[30:31], 0
	s_waitcnt vmcnt(1)
	v_cmp_neq_f64_e32 vcc, 0, v[8:9]
	v_cndmask_b32_e32 v9, v4, v37, vcc
	v_cndmask_b32_e32 v8, v5, v38, vcc
	v_add_co_u32_e32 v37, vcc, 1, v9
	v_addc_co_u32_e32 v38, vcc, 0, v8, vcc
	v_cmp_neq_f64_e32 vcc, 0, v[10:11]
	v_cndmask_b32_e32 v9, v9, v37, vcc
	v_cndmask_b32_e32 v8, v8, v38, vcc
	v_add_co_u32_e32 v10, vcc, 1, v9
	v_addc_co_u32_e32 v11, vcc, 0, v8, vcc
	s_waitcnt vmcnt(0)
	v_cmp_neq_f64_e32 vcc, 0, v[12:13]
	v_cndmask_b32_e32 v37, v9, v10, vcc
	v_cndmask_b32_e32 v12, v8, v11, vcc
	v_add_co_u32_e32 v38, vcc, 1, v37
	v_addc_co_u32_e32 v13, vcc, 0, v12, vcc
	v_cmp_neq_f64_e32 vcc, 0, v[14:15]
	v_mov_b32_e32 v8, v0
	v_mov_b32_e32 v9, v1
	;; [unrolled: 1-line block ×6, first 2 shown]
	v_cndmask_b32_e32 v13, v12, v13, vcc
	v_cndmask_b32_e32 v12, v37, v38, vcc
.LBB18_20:                              ;   in Loop: Header=BB18_4 Depth=1
	s_andn2_b64 vcc, exec, s[30:31]
	s_cbranch_vccnz .LBB18_22
; %bb.21:                               ;   in Loop: Header=BB18_4 Depth=1
	v_mov_b32_e32 v9, s17
	v_add_co_u32_e32 v8, vcc, s16, v27
	v_addc_co_u32_e32 v9, vcc, v9, v28, vcc
	global_load_dwordx2 v[8:9], v[8:9], off offset:1024
	v_mov_b32_e32 v11, s17
	v_add_co_u32_e32 v10, vcc, s16, v25
	v_addc_co_u32_e32 v11, vcc, v11, v26, vcc
	global_load_dwordx2 v[10:11], v[10:11], off offset:1024
	;; [unrolled: 4-line block ×4, first 2 shown]
	v_add_co_u32_e32 v37, vcc, 1, v4
	v_addc_co_u32_e32 v38, vcc, 0, v5, vcc
	s_waitcnt vmcnt(3)
	v_cmp_neq_f64_e32 vcc, 0, v[8:9]
	v_cndmask_b32_e32 v4, v4, v37, vcc
	v_cndmask_b32_e32 v5, v5, v38, vcc
	v_add_co_u32_e32 v8, vcc, 1, v4
	v_addc_co_u32_e32 v9, vcc, 0, v5, vcc
	s_waitcnt vmcnt(2)
	v_cmp_neq_f64_e32 vcc, 0, v[10:11]
	v_cndmask_b32_e32 v4, v4, v8, vcc
	v_cndmask_b32_e32 v5, v5, v9, vcc
	;; [unrolled: 6-line block ×4, first 2 shown]
	v_mov_b32_e32 v15, v7
	v_mov_b32_e32 v14, v6
	;; [unrolled: 1-line block ×8, first 2 shown]
.LBB18_22:                              ;   in Loop: Header=BB18_4 Depth=1
	v_mov_b32_e32 v0, v8
	v_mov_b32_e32 v1, v9
	;; [unrolled: 1-line block ×8, first 2 shown]
	s_or_b64 exec, exec, s[28:29]
	s_and_saveexec_b64 s[28:29], s[2:3]
	s_cbranch_execz .LBB18_3
.LBB18_23:                              ;   in Loop: Header=BB18_4 Depth=1
	s_and_b64 vcc, exec, s[8:9]
	s_mov_b64 s[8:9], -1
                                        ; implicit-def: $vgpr8_vgpr9_vgpr10_vgpr11_vgpr12_vgpr13_vgpr14_vgpr15
	s_cbranch_vccnz .LBB18_25
; %bb.24:                               ;   in Loop: Header=BB18_4 Depth=1
	v_mov_b32_e32 v8, s17
	v_add_co_u32_e32 v12, vcc, s16, v35
	v_addc_co_u32_e32 v13, vcc, v8, v36, vcc
	global_load_dwordx4 v[8:11], v[12:13], off
	s_nop 0
	global_load_dwordx4 v[12:15], v[12:13], off offset:16
	v_add_co_u32_e32 v37, vcc, 1, v6
	v_addc_co_u32_e32 v38, vcc, 0, v7, vcc
	s_mov_b64 s[8:9], 0
	s_waitcnt vmcnt(1)
	v_cmp_neq_f64_e32 vcc, 0, v[8:9]
	v_cndmask_b32_e32 v9, v6, v37, vcc
	v_cndmask_b32_e32 v8, v7, v38, vcc
	v_add_co_u32_e32 v37, vcc, 1, v9
	v_addc_co_u32_e32 v38, vcc, 0, v8, vcc
	v_cmp_neq_f64_e32 vcc, 0, v[10:11]
	v_cndmask_b32_e32 v9, v9, v37, vcc
	v_cndmask_b32_e32 v8, v8, v38, vcc
	v_add_co_u32_e32 v10, vcc, 1, v9
	v_addc_co_u32_e32 v11, vcc, 0, v8, vcc
	s_waitcnt vmcnt(0)
	v_cmp_neq_f64_e32 vcc, 0, v[12:13]
	v_mov_b32_e32 v12, v4
	v_mov_b32_e32 v13, v5
	v_cndmask_b32_e32 v38, v9, v10, vcc
	v_cndmask_b32_e32 v37, v8, v11, vcc
	v_add_co_u32_e32 v39, vcc, 1, v38
	v_addc_co_u32_e32 v40, vcc, 0, v37, vcc
	v_cmp_neq_f64_e32 vcc, 0, v[14:15]
	v_mov_b32_e32 v8, v0
	v_mov_b32_e32 v9, v1
	;; [unrolled: 1-line block ×4, first 2 shown]
	v_cndmask_b32_e32 v15, v37, v40, vcc
	v_cndmask_b32_e32 v14, v38, v39, vcc
.LBB18_25:                              ;   in Loop: Header=BB18_4 Depth=1
	s_andn2_b64 vcc, exec, s[8:9]
	s_cbranch_vccnz .LBB18_2
; %bb.26:                               ;   in Loop: Header=BB18_4 Depth=1
	v_mov_b32_e32 v9, s17
	v_add_co_u32_e32 v8, vcc, s16, v27
	v_addc_co_u32_e32 v9, vcc, v9, v28, vcc
	global_load_dwordx2 v[8:9], v[8:9], off offset:1536
	v_mov_b32_e32 v11, s17
	v_add_co_u32_e32 v10, vcc, s16, v25
	v_addc_co_u32_e32 v11, vcc, v11, v26, vcc
	global_load_dwordx2 v[10:11], v[10:11], off offset:1536
	;; [unrolled: 4-line block ×4, first 2 shown]
	v_add_co_u32_e32 v37, vcc, 1, v6
	v_addc_co_u32_e32 v38, vcc, 0, v7, vcc
	s_waitcnt vmcnt(3)
	v_cmp_neq_f64_e32 vcc, 0, v[8:9]
	v_cndmask_b32_e32 v6, v6, v37, vcc
	v_cndmask_b32_e32 v7, v7, v38, vcc
	v_add_co_u32_e32 v8, vcc, 1, v6
	v_addc_co_u32_e32 v9, vcc, 0, v7, vcc
	s_waitcnt vmcnt(2)
	v_cmp_neq_f64_e32 vcc, 0, v[10:11]
	v_cndmask_b32_e32 v6, v6, v8, vcc
	v_cndmask_b32_e32 v7, v7, v9, vcc
	v_add_co_u32_e32 v8, vcc, 1, v6
	v_addc_co_u32_e32 v9, vcc, 0, v7, vcc
	s_waitcnt vmcnt(1)
	v_cmp_neq_f64_e32 vcc, 0, v[12:13]
	v_cndmask_b32_e32 v6, v6, v8, vcc
	v_cndmask_b32_e32 v7, v7, v9, vcc
	v_add_co_u32_e32 v8, vcc, 1, v6
	v_addc_co_u32_e32 v9, vcc, 0, v7, vcc
	s_waitcnt vmcnt(0)
	v_cmp_neq_f64_e32 vcc, 0, v[14:15]
	v_cndmask_b32_e32 v7, v7, v9, vcc
	v_cndmask_b32_e32 v6, v6, v8, vcc
	v_mov_b32_e32 v15, v7
	v_mov_b32_e32 v14, v6
	;; [unrolled: 1-line block ×8, first 2 shown]
	s_branch .LBB18_2
.LBB18_27:
	s_or_b64 exec, exec, s[26:27]
.LBB18_28:
	s_or_b64 exec, exec, s[20:21]
	s_sub_i32 s0, s14, s33
	s_cmp_lt_i32 s0, 1
	s_cbranch_scc1 .LBB18_134
; %bb.29:
	v_mov_b32_e32 v17, 0
	v_lshlrev_b64 v[8:9], 3, v[16:17]
	v_mov_b32_e32 v10, s17
	v_add_co_u32_e32 v17, vcc, s16, v8
	s_cmp_lg_u32 s12, 1
	v_addc_co_u32_e32 v25, vcc, v10, v9, vcc
	s_cselect_b64 s[0:1], -1, 0
	v_cmp_gt_i32_e32 vcc, s13, v18
	v_ashrrev_i32_e32 v19, 31, v18
	s_and_saveexec_b64 s[2:3], vcc
	s_cbranch_execz .LBB18_55
; %bb.30:
	v_mul_lo_u32 v10, s19, v18
	v_mul_lo_u32 v11, s18, v19
	v_mad_u64_u32 v[8:9], s[4:5], s18, v18, 0
	v_add3_u32 v9, v9, v11, v10
	v_lshlrev_b64 v[8:9], 3, v[8:9]
	v_mov_b32_e32 v10, s17
	v_add_co_u32_e32 v20, vcc, v17, v8
	v_addc_co_u32_e32 v21, vcc, v25, v9, vcc
	v_lshlrev_b64 v[8:9], 3, v[18:19]
	v_add_co_u32_e32 v26, vcc, s16, v8
	v_addc_co_u32_e32 v27, vcc, v10, v9, vcc
	v_cmp_gt_i32_e32 vcc, s14, v16
	s_and_saveexec_b64 s[4:5], vcc
	s_cbranch_execz .LBB18_36
; %bb.31:
	s_and_b64 vcc, exec, s[0:1]
	s_cbranch_vccz .LBB18_33
; %bb.32:
	global_load_dwordx2 v[28:29], v[20:21], off
	v_mov_b32_e32 v15, v7
	v_mov_b32_e32 v8, v0
	;; [unrolled: 1-line block ×8, first 2 shown]
	s_waitcnt vmcnt(0)
	v_cmp_neq_f64_e32 vcc, 0, v[28:29]
	v_cndmask_b32_e64 v8, 0, 1, vcc
	v_add_co_u32_e32 v8, vcc, v0, v8
	v_addc_co_u32_e32 v9, vcc, 0, v1, vcc
	s_cbranch_execz .LBB18_34
	s_branch .LBB18_35
.LBB18_33:
                                        ; implicit-def: $vgpr8_vgpr9_vgpr10_vgpr11_vgpr12_vgpr13_vgpr14_vgpr15
.LBB18_34:
	v_mad_u64_u32 v[8:9], s[6:7], s18, v16, 0
	v_mad_u64_u32 v[9:10], s[6:7], s19, v16, v[9:10]
	v_lshlrev_b64 v[8:9], 3, v[8:9]
	v_add_co_u32_e32 v8, vcc, v26, v8
	v_addc_co_u32_e32 v9, vcc, v27, v9, vcc
	global_load_dwordx2 v[8:9], v[8:9], off
	s_waitcnt vmcnt(0)
	v_cmp_neq_f64_e32 vcc, 0, v[8:9]
	v_cndmask_b32_e64 v8, 0, 1, vcc
	v_add_co_u32_e32 v0, vcc, v0, v8
	v_addc_co_u32_e32 v1, vcc, 0, v1, vcc
	v_mov_b32_e32 v15, v7
	v_mov_b32_e32 v14, v6
	;; [unrolled: 1-line block ×8, first 2 shown]
.LBB18_35:
	v_mov_b32_e32 v0, v8
	v_mov_b32_e32 v1, v9
	;; [unrolled: 1-line block ×8, first 2 shown]
.LBB18_36:
	s_or_b64 exec, exec, s[4:5]
	v_or_b32_e32 v28, 1, v16
	v_cmp_gt_i32_e32 vcc, s14, v28
	s_and_saveexec_b64 s[4:5], vcc
	s_cbranch_execz .LBB18_42
; %bb.37:
	s_andn2_b64 vcc, exec, s[0:1]
	s_cbranch_vccnz .LBB18_39
; %bb.38:
	global_load_dwordx2 v[29:30], v[20:21], off offset:8
	v_mov_b32_e32 v15, v7
	v_mov_b32_e32 v8, v0
	v_mov_b32_e32 v9, v1
	v_mov_b32_e32 v14, v6
	v_mov_b32_e32 v13, v5
	v_mov_b32_e32 v12, v4
	v_mov_b32_e32 v11, v3
	v_mov_b32_e32 v10, v2
	s_waitcnt vmcnt(0)
	v_cmp_neq_f64_e32 vcc, 0, v[29:30]
	v_cndmask_b32_e64 v8, 0, 1, vcc
	v_add_co_u32_e32 v8, vcc, v0, v8
	v_addc_co_u32_e32 v9, vcc, 0, v1, vcc
	s_cbranch_execz .LBB18_40
	s_branch .LBB18_41
.LBB18_39:
                                        ; implicit-def: $vgpr8_vgpr9_vgpr10_vgpr11_vgpr12_vgpr13_vgpr14_vgpr15
.LBB18_40:
	v_mad_u64_u32 v[8:9], s[6:7], s18, v28, 0
	v_mad_u64_u32 v[9:10], s[6:7], s19, v28, v[9:10]
	v_lshlrev_b64 v[8:9], 3, v[8:9]
	v_add_co_u32_e32 v8, vcc, v26, v8
	v_addc_co_u32_e32 v9, vcc, v27, v9, vcc
	global_load_dwordx2 v[8:9], v[8:9], off
	s_waitcnt vmcnt(0)
	v_cmp_neq_f64_e32 vcc, 0, v[8:9]
	v_cndmask_b32_e64 v8, 0, 1, vcc
	v_add_co_u32_e32 v0, vcc, v0, v8
	v_addc_co_u32_e32 v1, vcc, 0, v1, vcc
	v_mov_b32_e32 v15, v7
	v_mov_b32_e32 v14, v6
	v_mov_b32_e32 v13, v5
	v_mov_b32_e32 v12, v4
	v_mov_b32_e32 v11, v3
	v_mov_b32_e32 v10, v2
	v_mov_b32_e32 v9, v1
	v_mov_b32_e32 v8, v0
.LBB18_41:
	v_mov_b32_e32 v0, v8
	v_mov_b32_e32 v1, v9
	v_mov_b32_e32 v2, v10
	v_mov_b32_e32 v3, v11
	v_mov_b32_e32 v4, v12
	v_mov_b32_e32 v5, v13
	v_mov_b32_e32 v6, v14
	v_mov_b32_e32 v7, v15
.LBB18_42:
	s_or_b64 exec, exec, s[4:5]
	v_or_b32_e32 v28, 2, v16
	v_cmp_gt_i32_e32 vcc, s14, v28
	s_and_saveexec_b64 s[4:5], vcc
	s_cbranch_execz .LBB18_48
; %bb.43:
	s_andn2_b64 vcc, exec, s[0:1]
	s_cbranch_vccnz .LBB18_45
; %bb.44:
	global_load_dwordx2 v[29:30], v[20:21], off offset:16
	v_mov_b32_e32 v15, v7
	v_mov_b32_e32 v8, v0
	v_mov_b32_e32 v9, v1
	v_mov_b32_e32 v14, v6
	v_mov_b32_e32 v13, v5
	v_mov_b32_e32 v12, v4
	v_mov_b32_e32 v11, v3
	v_mov_b32_e32 v10, v2
	s_waitcnt vmcnt(0)
	v_cmp_neq_f64_e32 vcc, 0, v[29:30]
	v_cndmask_b32_e64 v8, 0, 1, vcc
	v_add_co_u32_e32 v8, vcc, v0, v8
	v_addc_co_u32_e32 v9, vcc, 0, v1, vcc
	s_cbranch_execz .LBB18_46
	s_branch .LBB18_47
.LBB18_45:
                                        ; implicit-def: $vgpr8_vgpr9_vgpr10_vgpr11_vgpr12_vgpr13_vgpr14_vgpr15
.LBB18_46:
	v_mad_u64_u32 v[8:9], s[6:7], s18, v28, 0
	v_mad_u64_u32 v[9:10], s[6:7], s19, v28, v[9:10]
	v_lshlrev_b64 v[8:9], 3, v[8:9]
	v_add_co_u32_e32 v8, vcc, v26, v8
	v_addc_co_u32_e32 v9, vcc, v27, v9, vcc
	global_load_dwordx2 v[8:9], v[8:9], off
	s_waitcnt vmcnt(0)
	v_cmp_neq_f64_e32 vcc, 0, v[8:9]
	v_cndmask_b32_e64 v8, 0, 1, vcc
	v_add_co_u32_e32 v0, vcc, v0, v8
	v_addc_co_u32_e32 v1, vcc, 0, v1, vcc
	v_mov_b32_e32 v15, v7
	v_mov_b32_e32 v14, v6
	v_mov_b32_e32 v13, v5
	v_mov_b32_e32 v12, v4
	v_mov_b32_e32 v11, v3
	v_mov_b32_e32 v10, v2
	v_mov_b32_e32 v9, v1
	v_mov_b32_e32 v8, v0
.LBB18_47:
	v_mov_b32_e32 v0, v8
	v_mov_b32_e32 v1, v9
	v_mov_b32_e32 v2, v10
	v_mov_b32_e32 v3, v11
	v_mov_b32_e32 v4, v12
	v_mov_b32_e32 v5, v13
	v_mov_b32_e32 v6, v14
	v_mov_b32_e32 v7, v15
.LBB18_48:
	;; [unrolled: 57-line block ×3, first 2 shown]
	s_or_b64 exec, exec, s[4:5]
.LBB18_55:
	s_or_b64 exec, exec, s[2:3]
	v_cmp_gt_i32_e32 vcc, s13, v24
	s_and_saveexec_b64 s[2:3], vcc
	s_cbranch_execz .LBB18_81
; %bb.56:
	v_ashrrev_i32_e32 v10, 31, v24
	v_mul_lo_u32 v11, s19, v24
	v_mad_u64_u32 v[8:9], s[4:5], s18, v24, 0
	v_mul_lo_u32 v10, s18, v10
	v_add3_u32 v9, v9, v10, v11
	v_lshlrev_b64 v[8:9], 3, v[8:9]
	v_mov_b32_e32 v10, s17
	v_add_co_u32_e32 v20, vcc, v17, v8
	v_addc_co_u32_e32 v21, vcc, v25, v9, vcc
	v_lshlrev_b64 v[8:9], 3, v[18:19]
	v_add_co_u32_e32 v24, vcc, s16, v8
	v_addc_co_u32_e32 v26, vcc, v10, v9, vcc
	v_cmp_gt_i32_e32 vcc, s14, v16
	s_and_saveexec_b64 s[4:5], vcc
	s_cbranch_execz .LBB18_62
; %bb.57:
	s_andn2_b64 vcc, exec, s[0:1]
	s_cbranch_vccnz .LBB18_59
; %bb.58:
	global_load_dwordx2 v[27:28], v[20:21], off
	v_mov_b32_e32 v15, v7
	v_mov_b32_e32 v10, v2
	;; [unrolled: 1-line block ×8, first 2 shown]
	s_waitcnt vmcnt(0)
	v_cmp_neq_f64_e32 vcc, 0, v[27:28]
	v_cndmask_b32_e64 v10, 0, 1, vcc
	v_add_co_u32_e32 v10, vcc, v2, v10
	v_addc_co_u32_e32 v11, vcc, 0, v3, vcc
	s_cbranch_execz .LBB18_60
	s_branch .LBB18_61
.LBB18_59:
                                        ; implicit-def: $vgpr8_vgpr9_vgpr10_vgpr11_vgpr12_vgpr13_vgpr14_vgpr15
.LBB18_60:
	v_mad_u64_u32 v[8:9], s[6:7], s18, v16, 0
	v_mad_u64_u32 v[9:10], s[6:7], s19, v16, v[9:10]
	v_lshlrev_b64 v[8:9], 3, v[8:9]
	v_add_co_u32_e32 v8, vcc, v24, v8
	v_addc_co_u32_e32 v9, vcc, v26, v9, vcc
	global_load_dwordx2 v[8:9], v[8:9], off offset:512
	s_waitcnt vmcnt(0)
	v_cmp_neq_f64_e32 vcc, 0, v[8:9]
	v_cndmask_b32_e64 v8, 0, 1, vcc
	v_add_co_u32_e32 v2, vcc, v2, v8
	v_addc_co_u32_e32 v3, vcc, 0, v3, vcc
	v_mov_b32_e32 v15, v7
	v_mov_b32_e32 v14, v6
	;; [unrolled: 1-line block ×8, first 2 shown]
.LBB18_61:
	v_mov_b32_e32 v0, v8
	v_mov_b32_e32 v1, v9
	;; [unrolled: 1-line block ×8, first 2 shown]
.LBB18_62:
	s_or_b64 exec, exec, s[4:5]
	v_or_b32_e32 v27, 1, v16
	v_cmp_gt_i32_e32 vcc, s14, v27
	s_and_saveexec_b64 s[4:5], vcc
	s_cbranch_execz .LBB18_68
; %bb.63:
	s_andn2_b64 vcc, exec, s[0:1]
	s_cbranch_vccnz .LBB18_65
; %bb.64:
	global_load_dwordx2 v[28:29], v[20:21], off offset:8
	v_mov_b32_e32 v15, v7
	v_mov_b32_e32 v10, v2
	v_mov_b32_e32 v11, v3
	v_mov_b32_e32 v14, v6
	v_mov_b32_e32 v13, v5
	v_mov_b32_e32 v12, v4
	v_mov_b32_e32 v9, v1
	v_mov_b32_e32 v8, v0
	s_waitcnt vmcnt(0)
	v_cmp_neq_f64_e32 vcc, 0, v[28:29]
	v_cndmask_b32_e64 v10, 0, 1, vcc
	v_add_co_u32_e32 v10, vcc, v2, v10
	v_addc_co_u32_e32 v11, vcc, 0, v3, vcc
	s_cbranch_execz .LBB18_66
	s_branch .LBB18_67
.LBB18_65:
                                        ; implicit-def: $vgpr8_vgpr9_vgpr10_vgpr11_vgpr12_vgpr13_vgpr14_vgpr15
.LBB18_66:
	v_mad_u64_u32 v[8:9], s[6:7], s18, v27, 0
	v_mad_u64_u32 v[9:10], s[6:7], s19, v27, v[9:10]
	v_lshlrev_b64 v[8:9], 3, v[8:9]
	v_add_co_u32_e32 v8, vcc, v24, v8
	v_addc_co_u32_e32 v9, vcc, v26, v9, vcc
	global_load_dwordx2 v[8:9], v[8:9], off offset:512
	s_waitcnt vmcnt(0)
	v_cmp_neq_f64_e32 vcc, 0, v[8:9]
	v_cndmask_b32_e64 v8, 0, 1, vcc
	v_add_co_u32_e32 v2, vcc, v2, v8
	v_addc_co_u32_e32 v3, vcc, 0, v3, vcc
	v_mov_b32_e32 v15, v7
	v_mov_b32_e32 v14, v6
	v_mov_b32_e32 v13, v5
	v_mov_b32_e32 v12, v4
	v_mov_b32_e32 v11, v3
	v_mov_b32_e32 v10, v2
	v_mov_b32_e32 v9, v1
	v_mov_b32_e32 v8, v0
.LBB18_67:
	v_mov_b32_e32 v0, v8
	v_mov_b32_e32 v1, v9
	v_mov_b32_e32 v2, v10
	v_mov_b32_e32 v3, v11
	v_mov_b32_e32 v4, v12
	v_mov_b32_e32 v5, v13
	v_mov_b32_e32 v6, v14
	v_mov_b32_e32 v7, v15
.LBB18_68:
	s_or_b64 exec, exec, s[4:5]
	v_or_b32_e32 v27, 2, v16
	v_cmp_gt_i32_e32 vcc, s14, v27
	s_and_saveexec_b64 s[4:5], vcc
	s_cbranch_execz .LBB18_74
; %bb.69:
	s_andn2_b64 vcc, exec, s[0:1]
	s_cbranch_vccnz .LBB18_71
; %bb.70:
	global_load_dwordx2 v[28:29], v[20:21], off offset:16
	v_mov_b32_e32 v15, v7
	v_mov_b32_e32 v10, v2
	v_mov_b32_e32 v11, v3
	v_mov_b32_e32 v14, v6
	v_mov_b32_e32 v13, v5
	v_mov_b32_e32 v12, v4
	v_mov_b32_e32 v9, v1
	v_mov_b32_e32 v8, v0
	s_waitcnt vmcnt(0)
	v_cmp_neq_f64_e32 vcc, 0, v[28:29]
	v_cndmask_b32_e64 v10, 0, 1, vcc
	v_add_co_u32_e32 v10, vcc, v2, v10
	v_addc_co_u32_e32 v11, vcc, 0, v3, vcc
	s_cbranch_execz .LBB18_72
	s_branch .LBB18_73
.LBB18_71:
                                        ; implicit-def: $vgpr8_vgpr9_vgpr10_vgpr11_vgpr12_vgpr13_vgpr14_vgpr15
.LBB18_72:
	v_mad_u64_u32 v[8:9], s[6:7], s18, v27, 0
	v_mad_u64_u32 v[9:10], s[6:7], s19, v27, v[9:10]
	v_lshlrev_b64 v[8:9], 3, v[8:9]
	v_add_co_u32_e32 v8, vcc, v24, v8
	v_addc_co_u32_e32 v9, vcc, v26, v9, vcc
	global_load_dwordx2 v[8:9], v[8:9], off offset:512
	s_waitcnt vmcnt(0)
	v_cmp_neq_f64_e32 vcc, 0, v[8:9]
	v_cndmask_b32_e64 v8, 0, 1, vcc
	v_add_co_u32_e32 v2, vcc, v2, v8
	v_addc_co_u32_e32 v3, vcc, 0, v3, vcc
	v_mov_b32_e32 v15, v7
	v_mov_b32_e32 v14, v6
	v_mov_b32_e32 v13, v5
	v_mov_b32_e32 v12, v4
	v_mov_b32_e32 v11, v3
	v_mov_b32_e32 v10, v2
	v_mov_b32_e32 v9, v1
	v_mov_b32_e32 v8, v0
.LBB18_73:
	v_mov_b32_e32 v0, v8
	v_mov_b32_e32 v1, v9
	v_mov_b32_e32 v2, v10
	v_mov_b32_e32 v3, v11
	v_mov_b32_e32 v4, v12
	v_mov_b32_e32 v5, v13
	v_mov_b32_e32 v6, v14
	v_mov_b32_e32 v7, v15
.LBB18_74:
	;; [unrolled: 57-line block ×3, first 2 shown]
	s_or_b64 exec, exec, s[4:5]
.LBB18_81:
	s_or_b64 exec, exec, s[2:3]
	v_or_b32_e32 v8, 0x80, v18
	v_cmp_gt_i32_e32 vcc, s13, v8
	s_and_saveexec_b64 s[2:3], vcc
	s_cbranch_execz .LBB18_107
; %bb.82:
	v_ashrrev_i32_e32 v10, 31, v8
	v_mul_lo_u32 v11, s19, v8
	v_mad_u64_u32 v[8:9], s[4:5], s18, v8, 0
	v_mul_lo_u32 v10, s18, v10
	v_add3_u32 v9, v9, v10, v11
	v_lshlrev_b64 v[8:9], 3, v[8:9]
	v_mov_b32_e32 v10, s17
	v_add_co_u32_e32 v20, vcc, v17, v8
	v_addc_co_u32_e32 v21, vcc, v25, v9, vcc
	v_lshlrev_b64 v[8:9], 3, v[18:19]
	v_add_co_u32_e32 v24, vcc, s16, v8
	v_addc_co_u32_e32 v26, vcc, v10, v9, vcc
	v_cmp_gt_i32_e32 vcc, s14, v16
	s_and_saveexec_b64 s[4:5], vcc
	s_cbranch_execz .LBB18_88
; %bb.83:
	s_andn2_b64 vcc, exec, s[0:1]
	s_cbranch_vccnz .LBB18_85
; %bb.84:
	global_load_dwordx2 v[27:28], v[20:21], off
	v_mov_b32_e32 v15, v7
	v_mov_b32_e32 v12, v4
	;; [unrolled: 1-line block ×8, first 2 shown]
	s_waitcnt vmcnt(0)
	v_cmp_neq_f64_e32 vcc, 0, v[27:28]
	v_cndmask_b32_e64 v12, 0, 1, vcc
	v_add_co_u32_e32 v12, vcc, v4, v12
	v_addc_co_u32_e32 v13, vcc, 0, v5, vcc
	s_cbranch_execz .LBB18_86
	s_branch .LBB18_87
.LBB18_85:
                                        ; implicit-def: $vgpr8_vgpr9_vgpr10_vgpr11_vgpr12_vgpr13_vgpr14_vgpr15
.LBB18_86:
	v_mad_u64_u32 v[8:9], s[6:7], s18, v16, 0
	v_mad_u64_u32 v[9:10], s[6:7], s19, v16, v[9:10]
	v_lshlrev_b64 v[8:9], 3, v[8:9]
	v_add_co_u32_e32 v8, vcc, v24, v8
	v_addc_co_u32_e32 v9, vcc, v26, v9, vcc
	global_load_dwordx2 v[8:9], v[8:9], off offset:1024
	s_waitcnt vmcnt(0)
	v_cmp_neq_f64_e32 vcc, 0, v[8:9]
	v_cndmask_b32_e64 v8, 0, 1, vcc
	v_add_co_u32_e32 v4, vcc, v4, v8
	v_addc_co_u32_e32 v5, vcc, 0, v5, vcc
	v_mov_b32_e32 v15, v7
	v_mov_b32_e32 v14, v6
	;; [unrolled: 1-line block ×8, first 2 shown]
.LBB18_87:
	v_mov_b32_e32 v0, v8
	v_mov_b32_e32 v1, v9
	;; [unrolled: 1-line block ×8, first 2 shown]
.LBB18_88:
	s_or_b64 exec, exec, s[4:5]
	v_or_b32_e32 v27, 1, v16
	v_cmp_gt_i32_e32 vcc, s14, v27
	s_and_saveexec_b64 s[4:5], vcc
	s_cbranch_execz .LBB18_94
; %bb.89:
	s_andn2_b64 vcc, exec, s[0:1]
	s_cbranch_vccnz .LBB18_91
; %bb.90:
	global_load_dwordx2 v[28:29], v[20:21], off offset:8
	v_mov_b32_e32 v15, v7
	v_mov_b32_e32 v12, v4
	v_mov_b32_e32 v13, v5
	v_mov_b32_e32 v14, v6
	v_mov_b32_e32 v11, v3
	v_mov_b32_e32 v10, v2
	v_mov_b32_e32 v9, v1
	v_mov_b32_e32 v8, v0
	s_waitcnt vmcnt(0)
	v_cmp_neq_f64_e32 vcc, 0, v[28:29]
	v_cndmask_b32_e64 v12, 0, 1, vcc
	v_add_co_u32_e32 v12, vcc, v4, v12
	v_addc_co_u32_e32 v13, vcc, 0, v5, vcc
	s_cbranch_execz .LBB18_92
	s_branch .LBB18_93
.LBB18_91:
                                        ; implicit-def: $vgpr8_vgpr9_vgpr10_vgpr11_vgpr12_vgpr13_vgpr14_vgpr15
.LBB18_92:
	v_mad_u64_u32 v[8:9], s[6:7], s18, v27, 0
	v_mad_u64_u32 v[9:10], s[6:7], s19, v27, v[9:10]
	v_lshlrev_b64 v[8:9], 3, v[8:9]
	v_add_co_u32_e32 v8, vcc, v24, v8
	v_addc_co_u32_e32 v9, vcc, v26, v9, vcc
	global_load_dwordx2 v[8:9], v[8:9], off offset:1024
	s_waitcnt vmcnt(0)
	v_cmp_neq_f64_e32 vcc, 0, v[8:9]
	v_cndmask_b32_e64 v8, 0, 1, vcc
	v_add_co_u32_e32 v4, vcc, v4, v8
	v_addc_co_u32_e32 v5, vcc, 0, v5, vcc
	v_mov_b32_e32 v15, v7
	v_mov_b32_e32 v14, v6
	v_mov_b32_e32 v13, v5
	v_mov_b32_e32 v12, v4
	v_mov_b32_e32 v11, v3
	v_mov_b32_e32 v10, v2
	v_mov_b32_e32 v9, v1
	v_mov_b32_e32 v8, v0
.LBB18_93:
	v_mov_b32_e32 v0, v8
	v_mov_b32_e32 v1, v9
	v_mov_b32_e32 v2, v10
	v_mov_b32_e32 v3, v11
	v_mov_b32_e32 v4, v12
	v_mov_b32_e32 v5, v13
	v_mov_b32_e32 v6, v14
	v_mov_b32_e32 v7, v15
.LBB18_94:
	s_or_b64 exec, exec, s[4:5]
	v_or_b32_e32 v27, 2, v16
	v_cmp_gt_i32_e32 vcc, s14, v27
	s_and_saveexec_b64 s[4:5], vcc
	s_cbranch_execz .LBB18_100
; %bb.95:
	s_andn2_b64 vcc, exec, s[0:1]
	s_cbranch_vccnz .LBB18_97
; %bb.96:
	global_load_dwordx2 v[28:29], v[20:21], off offset:16
	v_mov_b32_e32 v15, v7
	v_mov_b32_e32 v12, v4
	v_mov_b32_e32 v13, v5
	v_mov_b32_e32 v14, v6
	v_mov_b32_e32 v11, v3
	v_mov_b32_e32 v10, v2
	v_mov_b32_e32 v9, v1
	v_mov_b32_e32 v8, v0
	s_waitcnt vmcnt(0)
	v_cmp_neq_f64_e32 vcc, 0, v[28:29]
	v_cndmask_b32_e64 v12, 0, 1, vcc
	v_add_co_u32_e32 v12, vcc, v4, v12
	v_addc_co_u32_e32 v13, vcc, 0, v5, vcc
	s_cbranch_execz .LBB18_98
	s_branch .LBB18_99
.LBB18_97:
                                        ; implicit-def: $vgpr8_vgpr9_vgpr10_vgpr11_vgpr12_vgpr13_vgpr14_vgpr15
.LBB18_98:
	v_mad_u64_u32 v[8:9], s[6:7], s18, v27, 0
	v_mad_u64_u32 v[9:10], s[6:7], s19, v27, v[9:10]
	v_lshlrev_b64 v[8:9], 3, v[8:9]
	v_add_co_u32_e32 v8, vcc, v24, v8
	v_addc_co_u32_e32 v9, vcc, v26, v9, vcc
	global_load_dwordx2 v[8:9], v[8:9], off offset:1024
	s_waitcnt vmcnt(0)
	v_cmp_neq_f64_e32 vcc, 0, v[8:9]
	v_cndmask_b32_e64 v8, 0, 1, vcc
	v_add_co_u32_e32 v4, vcc, v4, v8
	v_addc_co_u32_e32 v5, vcc, 0, v5, vcc
	v_mov_b32_e32 v15, v7
	v_mov_b32_e32 v14, v6
	v_mov_b32_e32 v13, v5
	v_mov_b32_e32 v12, v4
	v_mov_b32_e32 v11, v3
	v_mov_b32_e32 v10, v2
	v_mov_b32_e32 v9, v1
	v_mov_b32_e32 v8, v0
.LBB18_99:
	v_mov_b32_e32 v0, v8
	v_mov_b32_e32 v1, v9
	v_mov_b32_e32 v2, v10
	v_mov_b32_e32 v3, v11
	v_mov_b32_e32 v4, v12
	v_mov_b32_e32 v5, v13
	v_mov_b32_e32 v6, v14
	v_mov_b32_e32 v7, v15
.LBB18_100:
	;; [unrolled: 57-line block ×3, first 2 shown]
	s_or_b64 exec, exec, s[4:5]
.LBB18_107:
	s_or_b64 exec, exec, s[2:3]
	v_or_b32_e32 v8, 0xc0, v18
	v_cmp_gt_i32_e32 vcc, s13, v8
	s_and_saveexec_b64 s[2:3], vcc
	s_cbranch_execz .LBB18_133
; %bb.108:
	v_ashrrev_i32_e32 v10, 31, v8
	v_mul_lo_u32 v11, s19, v8
	v_mad_u64_u32 v[8:9], s[4:5], s18, v8, 0
	v_mul_lo_u32 v10, s18, v10
	v_add3_u32 v9, v9, v10, v11
	v_lshlrev_b64 v[8:9], 3, v[8:9]
	v_mov_b32_e32 v10, s17
	v_add_co_u32_e32 v20, vcc, v17, v8
	v_addc_co_u32_e32 v21, vcc, v25, v9, vcc
	v_lshlrev_b64 v[8:9], 3, v[18:19]
	v_add_co_u32_e32 v17, vcc, s16, v8
	v_addc_co_u32_e32 v18, vcc, v10, v9, vcc
	v_cndmask_b32_e64 v8, 0, 1, s[0:1]
	v_cmp_gt_i32_e32 vcc, s14, v16
	v_cmp_ne_u32_e64 s[0:1], 1, v8
	s_and_saveexec_b64 s[4:5], vcc
	s_cbranch_execz .LBB18_114
; %bb.109:
	s_and_b64 vcc, exec, s[0:1]
	s_cbranch_vccnz .LBB18_111
; %bb.110:
	global_load_dwordx2 v[24:25], v[20:21], off
	v_mov_b32_e32 v15, v7
	v_mov_b32_e32 v14, v6
	;; [unrolled: 1-line block ×8, first 2 shown]
	s_waitcnt vmcnt(0)
	v_cmp_neq_f64_e32 vcc, 0, v[24:25]
	v_cndmask_b32_e64 v14, 0, 1, vcc
	v_add_co_u32_e32 v14, vcc, v6, v14
	v_addc_co_u32_e32 v15, vcc, 0, v7, vcc
	s_cbranch_execz .LBB18_112
	s_branch .LBB18_113
.LBB18_111:
                                        ; implicit-def: $vgpr8_vgpr9_vgpr10_vgpr11_vgpr12_vgpr13_vgpr14_vgpr15
.LBB18_112:
	v_mad_u64_u32 v[8:9], s[6:7], s18, v16, 0
	v_mad_u64_u32 v[9:10], s[6:7], s19, v16, v[9:10]
	v_lshlrev_b64 v[8:9], 3, v[8:9]
	v_add_co_u32_e32 v8, vcc, v17, v8
	v_addc_co_u32_e32 v9, vcc, v18, v9, vcc
	global_load_dwordx2 v[8:9], v[8:9], off offset:1536
	s_waitcnt vmcnt(0)
	v_cmp_neq_f64_e32 vcc, 0, v[8:9]
	v_cndmask_b32_e64 v8, 0, 1, vcc
	v_add_co_u32_e32 v6, vcc, v6, v8
	v_addc_co_u32_e32 v7, vcc, 0, v7, vcc
	v_mov_b32_e32 v15, v7
	v_mov_b32_e32 v14, v6
	;; [unrolled: 1-line block ×8, first 2 shown]
.LBB18_113:
	v_mov_b32_e32 v0, v8
	v_mov_b32_e32 v1, v9
	;; [unrolled: 1-line block ×8, first 2 shown]
.LBB18_114:
	s_or_b64 exec, exec, s[4:5]
	v_or_b32_e32 v19, 1, v16
	v_cmp_gt_i32_e32 vcc, s14, v19
	s_and_saveexec_b64 s[4:5], vcc
	s_cbranch_execz .LBB18_120
; %bb.115:
	s_and_b64 vcc, exec, s[0:1]
	s_cbranch_vccnz .LBB18_117
; %bb.116:
	global_load_dwordx2 v[24:25], v[20:21], off offset:8
	v_mov_b32_e32 v15, v7
	v_mov_b32_e32 v14, v6
	v_mov_b32_e32 v13, v5
	v_mov_b32_e32 v12, v4
	v_mov_b32_e32 v11, v3
	v_mov_b32_e32 v10, v2
	v_mov_b32_e32 v9, v1
	v_mov_b32_e32 v8, v0
	s_waitcnt vmcnt(0)
	v_cmp_neq_f64_e32 vcc, 0, v[24:25]
	v_cndmask_b32_e64 v14, 0, 1, vcc
	v_add_co_u32_e32 v14, vcc, v6, v14
	v_addc_co_u32_e32 v15, vcc, 0, v7, vcc
	s_cbranch_execz .LBB18_118
	s_branch .LBB18_119
.LBB18_117:
                                        ; implicit-def: $vgpr8_vgpr9_vgpr10_vgpr11_vgpr12_vgpr13_vgpr14_vgpr15
.LBB18_118:
	v_mad_u64_u32 v[8:9], s[6:7], s18, v19, 0
	v_mad_u64_u32 v[9:10], s[6:7], s19, v19, v[9:10]
	v_lshlrev_b64 v[8:9], 3, v[8:9]
	v_add_co_u32_e32 v8, vcc, v17, v8
	v_addc_co_u32_e32 v9, vcc, v18, v9, vcc
	global_load_dwordx2 v[8:9], v[8:9], off offset:1536
	s_waitcnt vmcnt(0)
	v_cmp_neq_f64_e32 vcc, 0, v[8:9]
	v_cndmask_b32_e64 v8, 0, 1, vcc
	v_add_co_u32_e32 v6, vcc, v6, v8
	v_addc_co_u32_e32 v7, vcc, 0, v7, vcc
	v_mov_b32_e32 v15, v7
	v_mov_b32_e32 v14, v6
	v_mov_b32_e32 v13, v5
	v_mov_b32_e32 v12, v4
	v_mov_b32_e32 v11, v3
	v_mov_b32_e32 v10, v2
	v_mov_b32_e32 v9, v1
	v_mov_b32_e32 v8, v0
.LBB18_119:
	v_mov_b32_e32 v0, v8
	v_mov_b32_e32 v1, v9
	v_mov_b32_e32 v2, v10
	v_mov_b32_e32 v3, v11
	v_mov_b32_e32 v4, v12
	v_mov_b32_e32 v5, v13
	v_mov_b32_e32 v6, v14
	v_mov_b32_e32 v7, v15
.LBB18_120:
	s_or_b64 exec, exec, s[4:5]
	v_or_b32_e32 v19, 2, v16
	v_cmp_gt_i32_e32 vcc, s14, v19
	s_and_saveexec_b64 s[4:5], vcc
	s_cbranch_execz .LBB18_126
; %bb.121:
	s_and_b64 vcc, exec, s[0:1]
	s_cbranch_vccnz .LBB18_123
; %bb.122:
	global_load_dwordx2 v[24:25], v[20:21], off offset:16
	v_mov_b32_e32 v15, v7
	v_mov_b32_e32 v14, v6
	v_mov_b32_e32 v13, v5
	v_mov_b32_e32 v12, v4
	v_mov_b32_e32 v11, v3
	v_mov_b32_e32 v10, v2
	v_mov_b32_e32 v9, v1
	v_mov_b32_e32 v8, v0
	s_waitcnt vmcnt(0)
	v_cmp_neq_f64_e32 vcc, 0, v[24:25]
	v_cndmask_b32_e64 v14, 0, 1, vcc
	v_add_co_u32_e32 v14, vcc, v6, v14
	v_addc_co_u32_e32 v15, vcc, 0, v7, vcc
	s_cbranch_execz .LBB18_124
	s_branch .LBB18_125
.LBB18_123:
                                        ; implicit-def: $vgpr8_vgpr9_vgpr10_vgpr11_vgpr12_vgpr13_vgpr14_vgpr15
.LBB18_124:
	v_mad_u64_u32 v[8:9], s[6:7], s18, v19, 0
	v_mad_u64_u32 v[9:10], s[6:7], s19, v19, v[9:10]
	v_lshlrev_b64 v[8:9], 3, v[8:9]
	v_add_co_u32_e32 v8, vcc, v17, v8
	v_addc_co_u32_e32 v9, vcc, v18, v9, vcc
	global_load_dwordx2 v[8:9], v[8:9], off offset:1536
	s_waitcnt vmcnt(0)
	v_cmp_neq_f64_e32 vcc, 0, v[8:9]
	v_cndmask_b32_e64 v8, 0, 1, vcc
	v_add_co_u32_e32 v6, vcc, v6, v8
	v_addc_co_u32_e32 v7, vcc, 0, v7, vcc
	v_mov_b32_e32 v15, v7
	v_mov_b32_e32 v14, v6
	v_mov_b32_e32 v13, v5
	v_mov_b32_e32 v12, v4
	v_mov_b32_e32 v11, v3
	v_mov_b32_e32 v10, v2
	v_mov_b32_e32 v9, v1
	v_mov_b32_e32 v8, v0
.LBB18_125:
	v_mov_b32_e32 v0, v8
	v_mov_b32_e32 v1, v9
	v_mov_b32_e32 v2, v10
	v_mov_b32_e32 v3, v11
	v_mov_b32_e32 v4, v12
	v_mov_b32_e32 v5, v13
	v_mov_b32_e32 v6, v14
	v_mov_b32_e32 v7, v15
.LBB18_126:
	;; [unrolled: 57-line block ×3, first 2 shown]
	s_or_b64 exec, exec, s[4:5]
.LBB18_133:
	s_or_b64 exec, exec, s[2:3]
.LBB18_134:
	v_lshlrev_b32_e32 v8, 5, v22
	v_lshlrev_b32_e32 v9, 3, v23
	s_movk_i32 s0, 0xf800
	v_and_or_b32 v8, v8, s0, v9
	s_movk_i32 s0, 0x100
	v_cmp_gt_u32_e32 vcc, s0, v22
	ds_write2st64_b64 v8, v[0:1], v[2:3] offset1:1
	ds_write2st64_b64 v8, v[4:5], v[6:7] offset0:2 offset1:3
	s_waitcnt lgkmcnt(0)
	s_barrier
	s_and_saveexec_b64 s[0:1], vcc
	s_cbranch_execz .LBB18_137
; %bb.135:
	v_lshlrev_b32_e32 v9, 3, v22
	ds_read2st64_b64 v[1:4], v9 offset1:4
	ds_read2st64_b64 v[5:8], v9 offset0:8 offset1:12
	v_add_u32_e32 v0, s15, v22
	s_waitcnt lgkmcnt(1)
	v_add_co_u32_e32 v1, vcc, v1, v3
	v_addc_co_u32_e32 v2, vcc, v2, v4, vcc
	s_waitcnt lgkmcnt(0)
	v_add_co_u32_e32 v5, vcc, v1, v5
	v_addc_co_u32_e32 v6, vcc, v2, v6, vcc
	ds_read2st64_b64 v[1:4], v9 offset0:16 offset1:20
	v_add_co_u32_e32 v5, vcc, v5, v7
	v_addc_co_u32_e32 v6, vcc, v6, v8, vcc
	s_waitcnt lgkmcnt(0)
	v_add_co_u32_e32 v1, vcc, v5, v1
	v_addc_co_u32_e32 v2, vcc, v6, v2, vcc
	ds_read2st64_b64 v[5:8], v9 offset0:24 offset1:28
	;; [unrolled: 6-line block ×6, first 2 shown]
	v_add_co_u32_e32 v1, vcc, v1, v3
	v_addc_co_u32_e32 v2, vcc, v2, v4, vcc
	s_waitcnt lgkmcnt(0)
	v_add_co_u32_e32 v1, vcc, v1, v5
	v_addc_co_u32_e32 v3, vcc, v2, v6, vcc
	v_add_co_u32_e32 v2, vcc, v1, v7
	v_addc_co_u32_e32 v3, vcc, v3, v8, vcc
	v_cmp_gt_i32_e32 vcc, s13, v0
	ds_write_b64 v9, v[2:3]
	s_and_b64 exec, exec, vcc
	s_cbranch_execz .LBB18_137
; %bb.136:
	v_ashrrev_i32_e32 v1, 31, v0
	v_lshlrev_b64 v[0:1], 3, v[0:1]
	v_mov_b32_e32 v4, s11
	v_add_co_u32_e32 v0, vcc, s10, v0
	v_addc_co_u32_e32 v1, vcc, v4, v1, vcc
	global_store_dwordx2 v[0:1], v[2:3], off
.LBB18_137:
	s_endpgm
	.section	.rodata,"a",@progbits
	.p2align	6, 0x0
	.amdhsa_kernel _ZN9rocsparseL14nnz_kernel_rowILi64ELi16ElidEEv16rocsparse_order_T2_S2_PKT3_lPT1_
		.amdhsa_group_segment_fixed_size 32768
		.amdhsa_private_segment_fixed_size 0
		.amdhsa_kernarg_size 296
		.amdhsa_user_sgpr_count 6
		.amdhsa_user_sgpr_private_segment_buffer 1
		.amdhsa_user_sgpr_dispatch_ptr 0
		.amdhsa_user_sgpr_queue_ptr 0
		.amdhsa_user_sgpr_kernarg_segment_ptr 1
		.amdhsa_user_sgpr_dispatch_id 0
		.amdhsa_user_sgpr_flat_scratch_init 0
		.amdhsa_user_sgpr_private_segment_size 0
		.amdhsa_uses_dynamic_stack 0
		.amdhsa_system_sgpr_private_segment_wavefront_offset 0
		.amdhsa_system_sgpr_workgroup_id_x 1
		.amdhsa_system_sgpr_workgroup_id_y 0
		.amdhsa_system_sgpr_workgroup_id_z 0
		.amdhsa_system_sgpr_workgroup_info 0
		.amdhsa_system_vgpr_workitem_id 1
		.amdhsa_next_free_vgpr 41
		.amdhsa_next_free_sgpr 61
		.amdhsa_reserve_vcc 1
		.amdhsa_reserve_flat_scratch 0
		.amdhsa_float_round_mode_32 0
		.amdhsa_float_round_mode_16_64 0
		.amdhsa_float_denorm_mode_32 3
		.amdhsa_float_denorm_mode_16_64 3
		.amdhsa_dx10_clamp 1
		.amdhsa_ieee_mode 1
		.amdhsa_fp16_overflow 0
		.amdhsa_exception_fp_ieee_invalid_op 0
		.amdhsa_exception_fp_denorm_src 0
		.amdhsa_exception_fp_ieee_div_zero 0
		.amdhsa_exception_fp_ieee_overflow 0
		.amdhsa_exception_fp_ieee_underflow 0
		.amdhsa_exception_fp_ieee_inexact 0
		.amdhsa_exception_int_div_zero 0
	.end_amdhsa_kernel
	.section	.text._ZN9rocsparseL14nnz_kernel_rowILi64ELi16ElidEEv16rocsparse_order_T2_S2_PKT3_lPT1_,"axG",@progbits,_ZN9rocsparseL14nnz_kernel_rowILi64ELi16ElidEEv16rocsparse_order_T2_S2_PKT3_lPT1_,comdat
.Lfunc_end18:
	.size	_ZN9rocsparseL14nnz_kernel_rowILi64ELi16ElidEEv16rocsparse_order_T2_S2_PKT3_lPT1_, .Lfunc_end18-_ZN9rocsparseL14nnz_kernel_rowILi64ELi16ElidEEv16rocsparse_order_T2_S2_PKT3_lPT1_
                                        ; -- End function
	.set _ZN9rocsparseL14nnz_kernel_rowILi64ELi16ElidEEv16rocsparse_order_T2_S2_PKT3_lPT1_.num_vgpr, 41
	.set _ZN9rocsparseL14nnz_kernel_rowILi64ELi16ElidEEv16rocsparse_order_T2_S2_PKT3_lPT1_.num_agpr, 0
	.set _ZN9rocsparseL14nnz_kernel_rowILi64ELi16ElidEEv16rocsparse_order_T2_S2_PKT3_lPT1_.numbered_sgpr, 34
	.set _ZN9rocsparseL14nnz_kernel_rowILi64ELi16ElidEEv16rocsparse_order_T2_S2_PKT3_lPT1_.num_named_barrier, 0
	.set _ZN9rocsparseL14nnz_kernel_rowILi64ELi16ElidEEv16rocsparse_order_T2_S2_PKT3_lPT1_.private_seg_size, 0
	.set _ZN9rocsparseL14nnz_kernel_rowILi64ELi16ElidEEv16rocsparse_order_T2_S2_PKT3_lPT1_.uses_vcc, 1
	.set _ZN9rocsparseL14nnz_kernel_rowILi64ELi16ElidEEv16rocsparse_order_T2_S2_PKT3_lPT1_.uses_flat_scratch, 0
	.set _ZN9rocsparseL14nnz_kernel_rowILi64ELi16ElidEEv16rocsparse_order_T2_S2_PKT3_lPT1_.has_dyn_sized_stack, 0
	.set _ZN9rocsparseL14nnz_kernel_rowILi64ELi16ElidEEv16rocsparse_order_T2_S2_PKT3_lPT1_.has_recursion, 0
	.set _ZN9rocsparseL14nnz_kernel_rowILi64ELi16ElidEEv16rocsparse_order_T2_S2_PKT3_lPT1_.has_indirect_call, 0
	.section	.AMDGPU.csdata,"",@progbits
; Kernel info:
; codeLenInByte = 6896
; TotalNumSgprs: 38
; NumVgprs: 41
; ScratchSize: 0
; MemoryBound: 0
; FloatMode: 240
; IeeeMode: 1
; LDSByteSize: 32768 bytes/workgroup (compile time only)
; SGPRBlocks: 8
; VGPRBlocks: 10
; NumSGPRsForWavesPerEU: 65
; NumVGPRsForWavesPerEU: 41
; Occupancy: 5
; WaveLimiterHint : 0
; COMPUTE_PGM_RSRC2:SCRATCH_EN: 0
; COMPUTE_PGM_RSRC2:USER_SGPR: 6
; COMPUTE_PGM_RSRC2:TRAP_HANDLER: 0
; COMPUTE_PGM_RSRC2:TGID_X_EN: 1
; COMPUTE_PGM_RSRC2:TGID_Y_EN: 0
; COMPUTE_PGM_RSRC2:TGID_Z_EN: 0
; COMPUTE_PGM_RSRC2:TIDIG_COMP_CNT: 1
	.section	.text._ZN9rocsparseL14nnz_kernel_colILi256ElidEEv16rocsparse_order_T1_S2_PKT2_lPT0_,"axG",@progbits,_ZN9rocsparseL14nnz_kernel_colILi256ElidEEv16rocsparse_order_T1_S2_PKT2_lPT0_,comdat
	.globl	_ZN9rocsparseL14nnz_kernel_colILi256ElidEEv16rocsparse_order_T1_S2_PKT2_lPT0_ ; -- Begin function _ZN9rocsparseL14nnz_kernel_colILi256ElidEEv16rocsparse_order_T1_S2_PKT2_lPT0_
	.p2align	8
	.type	_ZN9rocsparseL14nnz_kernel_colILi256ElidEEv16rocsparse_order_T1_S2_PKT2_lPT0_,@function
_ZN9rocsparseL14nnz_kernel_colILi256ElidEEv16rocsparse_order_T1_S2_PKT2_lPT0_: ; @_ZN9rocsparseL14nnz_kernel_colILi256ElidEEv16rocsparse_order_T1_S2_PKT2_lPT0_
; %bb.0:
	s_load_dwordx2 s[8:9], s[4:5], 0x0
	s_load_dwordx4 s[0:3], s[4:5], 0x10
	s_waitcnt lgkmcnt(0)
	s_ashr_i32 s7, s9, 31
	s_lshr_b32 s7, s7, 24
	s_add_i32 s7, s9, s7
	s_and_b32 s10, s7, 0xffffff00
	s_cmp_eq_u32 s8, 1
	s_cbranch_scc1 .LBB19_6
; %bb.1:
	v_mov_b32_e32 v1, 0
	v_mov_b32_e32 v2, 0
	s_cmpk_lt_i32 s9, 0x100
	s_cbranch_scc1 .LBB19_7
; %bb.2:
	v_mad_u64_u32 v[1:2], s[12:13], s2, v0, 0
	s_ashr_i32 s7, s6, 31
	v_mad_u64_u32 v[2:3], s[12:13], s3, v0, v[2:3]
	s_lshl_b64 s[12:13], s[6:7], 3
	s_add_u32 s7, s0, s12
	v_lshlrev_b64 v[1:2], 3, v[1:2]
	s_addc_u32 s8, s1, s13
	v_mov_b32_e32 v4, s8
	v_add_co_u32_e32 v3, vcc, s7, v1
	v_addc_co_u32_e32 v4, vcc, v4, v2, vcc
	s_lshl_b64 s[12:13], s[2:3], 11
	v_mov_b32_e32 v1, 0
	v_mov_b32_e32 v2, 0
	s_mov_b32 s7, 0
	v_mov_b32_e32 v5, s13
	s_branch .LBB19_4
.LBB19_3:                               ;   in Loop: Header=BB19_4 Depth=1
	s_or_b64 exec, exec, s[14:15]
	s_addk_i32 s7, 0x100
	v_add_co_u32_e32 v3, vcc, s12, v3
	s_cmp_ge_i32 s7, s10
	v_addc_co_u32_e32 v4, vcc, v4, v5, vcc
	s_cbranch_scc1 .LBB19_7
.LBB19_4:                               ; =>This Inner Loop Header: Depth=1
	v_add_u32_e32 v6, s7, v0
	v_cmp_gt_i32_e32 vcc, s9, v6
	s_and_saveexec_b64 s[14:15], vcc
	s_cbranch_execz .LBB19_3
; %bb.5:                                ;   in Loop: Header=BB19_4 Depth=1
	global_load_dwordx2 v[6:7], v[3:4], off
	s_waitcnt vmcnt(0)
	v_cmp_neq_f64_e32 vcc, 0, v[6:7]
	v_cndmask_b32_e64 v6, 0, 1, vcc
	v_add_co_u32_e32 v1, vcc, v1, v6
	v_addc_co_u32_e32 v2, vcc, 0, v2, vcc
	s_branch .LBB19_3
.LBB19_6:
                                        ; implicit-def: $vgpr1_vgpr2
	s_load_dwordx2 s[4:5], s[4:5], 0x20
	s_cbranch_execnz .LBB19_10
	s_branch .LBB19_16
.LBB19_7:
	v_add_u32_e32 v3, s10, v0
	v_cmp_gt_i32_e32 vcc, s9, v3
	s_and_saveexec_b64 s[12:13], vcc
	s_cbranch_execz .LBB19_9
; %bb.8:
	v_ashrrev_i32_e32 v4, 31, v3
	v_mul_lo_u32 v5, s3, v3
	v_mul_lo_u32 v6, s2, v4
	v_mad_u64_u32 v[3:4], s[14:15], s2, v3, 0
	s_ashr_i32 s7, s6, 31
	s_lshl_b64 s[14:15], s[6:7], 3
	v_add3_u32 v4, v4, v6, v5
	v_lshlrev_b64 v[3:4], 3, v[3:4]
	v_mov_b32_e32 v5, s1
	v_add_co_u32_e32 v3, vcc, s0, v3
	v_addc_co_u32_e32 v4, vcc, v5, v4, vcc
	v_mov_b32_e32 v5, s15
	v_add_co_u32_e32 v3, vcc, s14, v3
	v_addc_co_u32_e32 v4, vcc, v4, v5, vcc
	global_load_dwordx2 v[3:4], v[3:4], off
	s_waitcnt vmcnt(0)
	v_cmp_neq_f64_e32 vcc, 0, v[3:4]
	v_cndmask_b32_e64 v3, 0, 1, vcc
	v_add_co_u32_e32 v1, vcc, v1, v3
	v_addc_co_u32_e32 v2, vcc, 0, v2, vcc
.LBB19_9:
	s_or_b64 exec, exec, s[12:13]
	s_load_dwordx2 s[4:5], s[4:5], 0x20
	s_branch .LBB19_16
.LBB19_10:
	s_ashr_i32 s7, s6, 31
	s_mul_hi_u32 s8, s2, s6
	s_mul_i32 s7, s2, s7
	s_add_i32 s7, s8, s7
	s_mul_i32 s3, s3, s6
	s_add_i32 s13, s7, s3
	s_mul_i32 s12, s2, s6
	v_cmp_gt_i32_e32 vcc, s9, v0
	s_lshl_b64 s[12:13], s[12:13], 3
	v_cndmask_b32_e32 v1, 0, v0, vcc
	s_add_u32 s0, s0, s12
	s_addc_u32 s1, s1, s13
	v_lshlrev_b32_e32 v3, 3, v1
	v_mov_b32_e32 v4, s1
	v_mov_b32_e32 v1, 0
	v_add_co_u32_e32 v3, vcc, s0, v3
	s_mov_b32 s2, 0
	v_mov_b32_e32 v2, 0
	s_cmpk_lt_i32 s9, 0x100
	v_addc_co_u32_e32 v4, vcc, 0, v4, vcc
	s_cbranch_scc1 .LBB19_13
; %bb.11:
	v_mov_b32_e32 v1, 0
	v_mov_b32_e32 v6, v4
	;; [unrolled: 1-line block ×4, first 2 shown]
.LBB19_12:                              ; =>This Inner Loop Header: Depth=1
	global_load_dwordx2 v[7:8], v[5:6], off
	v_add_co_u32_e32 v5, vcc, 0x800, v5
	v_addc_co_u32_e32 v6, vcc, 0, v6, vcc
	s_addk_i32 s2, 0x100
	s_cmp_ge_i32 s2, s10
	s_waitcnt vmcnt(0)
	v_cmp_neq_f64_e32 vcc, 0, v[7:8]
	v_cndmask_b32_e64 v7, 0, 1, vcc
	v_add_co_u32_e32 v1, vcc, v1, v7
	v_addc_co_u32_e32 v2, vcc, 0, v2, vcc
	s_cbranch_scc0 .LBB19_12
.LBB19_13:
	v_add_u32_e32 v5, s10, v0
	v_cmp_gt_i32_e32 vcc, s9, v5
	s_and_saveexec_b64 s[0:1], vcc
	s_cbranch_execz .LBB19_15
; %bb.14:
	s_ashr_i32 s11, s10, 31
	s_lshl_b64 s[2:3], s[10:11], 3
	v_mov_b32_e32 v5, s3
	v_add_co_u32_e32 v3, vcc, s2, v3
	v_addc_co_u32_e32 v4, vcc, v4, v5, vcc
	global_load_dwordx2 v[3:4], v[3:4], off
	s_waitcnt vmcnt(0)
	v_cmp_neq_f64_e32 vcc, 0, v[3:4]
	v_cndmask_b32_e64 v3, 0, 1, vcc
	v_add_co_u32_e32 v1, vcc, v1, v3
	v_addc_co_u32_e32 v2, vcc, 0, v2, vcc
.LBB19_15:
	s_or_b64 exec, exec, s[0:1]
.LBB19_16:
	v_lshlrev_b32_e32 v3, 3, v0
	s_cmpk_lt_i32 s9, 0x100
	s_mov_b64 s[0:1], -1
	v_cmp_eq_u32_e32 vcc, 0, v0
	ds_write_b64 v3, v[1:2]
	s_waitcnt lgkmcnt(0)
	s_cbranch_scc1 .LBB19_20
; %bb.17:
	s_and_b64 vcc, exec, s[0:1]
	s_cbranch_vccnz .LBB19_30
.LBB19_18:
	v_cmp_eq_u32_e32 vcc, 0, v0
	s_and_saveexec_b64 s[0:1], vcc
	s_cbranch_execnz .LBB19_47
.LBB19_19:
	s_endpgm
.LBB19_20:
	s_cmp_gt_i32 s9, 1
	s_cselect_b64 s[0:1], -1, 0
	s_mov_b32 s3, 1
	s_and_b64 s[10:11], vcc, s[0:1]
	s_barrier
	s_and_saveexec_b64 s[0:1], s[10:11]
	s_cbranch_execz .LBB19_29
; %bb.21:
	v_mov_b32_e32 v1, 0
	ds_read_b64 v[1:2], v1
	s_add_i32 s2, s9, -1
	s_add_i32 s7, s9, -2
	s_cmp_lt_u32 s7, 7
	s_cbranch_scc1 .LBB19_25
; %bb.22:
	s_and_b32 s3, s2, -8
	s_mov_b32 s8, 0
	s_mov_b32 s7, 8
.LBB19_23:                              ; =>This Inner Loop Header: Depth=1
	v_mov_b32_e32 v16, s7
	ds_read2_b64 v[4:7], v16 offset1:1
	ds_read2_b64 v[8:11], v16 offset0:2 offset1:3
	ds_read2_b64 v[12:15], v16 offset0:4 offset1:5
	;; [unrolled: 1-line block ×3, first 2 shown]
	s_mov_b32 s9, s8
	s_waitcnt lgkmcnt(3)
	v_add_co_u32_e32 v1, vcc, v1, v4
	v_addc_co_u32_e32 v2, vcc, v2, v5, vcc
	v_add_co_u32_e32 v1, vcc, v1, v6
	v_addc_co_u32_e32 v2, vcc, v2, v7, vcc
	s_waitcnt lgkmcnt(2)
	v_add_co_u32_e32 v1, vcc, v1, v8
	v_addc_co_u32_e32 v2, vcc, v2, v9, vcc
	v_add_co_u32_e32 v1, vcc, v1, v10
	v_addc_co_u32_e32 v2, vcc, v2, v11, vcc
	;; [unrolled: 5-line block ×3, first 2 shown]
	s_waitcnt lgkmcnt(0)
	v_add_co_u32_e32 v1, vcc, v1, v16
	v_addc_co_u32_e32 v2, vcc, v2, v17, vcc
	s_add_i32 s7, s7, 64
	s_add_i32 s8, s8, 8
	v_add_co_u32_e32 v1, vcc, v1, v18
	s_cmp_lg_u32 s3, s8
	v_addc_co_u32_e32 v2, vcc, v2, v19, vcc
	s_cbranch_scc1 .LBB19_23
; %bb.24:
	s_add_i32 s3, s9, 9
.LBB19_25:
	s_and_b32 s2, s2, 7
	s_cmp_eq_u32 s2, 0
	s_cbranch_scc1 .LBB19_28
; %bb.26:
	s_lshl_b32 s3, s3, 3
.LBB19_27:                              ; =>This Inner Loop Header: Depth=1
	v_mov_b32_e32 v4, s3
	ds_read_b64 v[4:5], v4
	s_add_i32 s3, s3, 8
	s_add_i32 s2, s2, -1
	s_cmp_lg_u32 s2, 0
	s_waitcnt lgkmcnt(0)
	v_add_co_u32_e32 v1, vcc, v1, v4
	v_addc_co_u32_e32 v2, vcc, v2, v5, vcc
	s_cbranch_scc1 .LBB19_27
.LBB19_28:
	v_mov_b32_e32 v4, 0
	s_waitcnt lgkmcnt(0)
	ds_write_b64 v4, v[1:2]
.LBB19_29:
	s_or_b64 exec, exec, s[0:1]
	s_waitcnt lgkmcnt(0)
	s_barrier
	s_branch .LBB19_18
.LBB19_30:
	s_movk_i32 s0, 0x80
	v_cmp_gt_u32_e32 vcc, s0, v0
	s_barrier
	s_and_saveexec_b64 s[0:1], vcc
	s_cbranch_execz .LBB19_32
; %bb.31:
	ds_read2st64_b64 v[4:7], v3 offset1:2
	s_waitcnt lgkmcnt(0)
	v_add_co_u32_e32 v1, vcc, v4, v6
	v_addc_co_u32_e32 v2, vcc, v5, v7, vcc
	ds_write_b64 v3, v[1:2]
.LBB19_32:
	s_or_b64 exec, exec, s[0:1]
	v_cmp_gt_u32_e32 vcc, 64, v0
	s_waitcnt lgkmcnt(0)
	s_barrier
	s_and_saveexec_b64 s[0:1], vcc
	s_cbranch_execz .LBB19_34
; %bb.33:
	ds_read2st64_b64 v[4:7], v3 offset1:1
	s_waitcnt lgkmcnt(0)
	v_add_co_u32_e32 v1, vcc, v4, v6
	v_addc_co_u32_e32 v2, vcc, v5, v7, vcc
	ds_write_b64 v3, v[1:2]
.LBB19_34:
	s_or_b64 exec, exec, s[0:1]
	v_cmp_gt_u32_e32 vcc, 32, v0
	s_waitcnt lgkmcnt(0)
	s_barrier
	s_and_saveexec_b64 s[0:1], vcc
	s_cbranch_execz .LBB19_36
; %bb.35:
	ds_read2_b64 v[4:7], v3 offset1:32
	s_waitcnt lgkmcnt(0)
	v_add_co_u32_e32 v1, vcc, v4, v6
	v_addc_co_u32_e32 v2, vcc, v5, v7, vcc
	ds_write_b64 v3, v[1:2]
.LBB19_36:
	s_or_b64 exec, exec, s[0:1]
	v_cmp_gt_u32_e32 vcc, 16, v0
	s_waitcnt lgkmcnt(0)
	s_barrier
	s_and_saveexec_b64 s[0:1], vcc
	s_cbranch_execz .LBB19_38
; %bb.37:
	ds_read2_b64 v[4:7], v3 offset1:16
	s_waitcnt lgkmcnt(0)
	v_add_co_u32_e32 v1, vcc, v4, v6
	v_addc_co_u32_e32 v2, vcc, v5, v7, vcc
	ds_write_b64 v3, v[1:2]
.LBB19_38:
	;; [unrolled: 13-line block ×5, first 2 shown]
	s_or_b64 exec, exec, s[0:1]
	v_cmp_eq_u32_e32 vcc, 0, v0
	s_waitcnt lgkmcnt(0)
	s_barrier
	s_and_saveexec_b64 s[0:1], vcc
	s_cbranch_execz .LBB19_46
; %bb.45:
	v_mov_b32_e32 v5, 0
	ds_read_b128 v[1:4], v5
	s_waitcnt lgkmcnt(0)
	v_add_co_u32_e32 v1, vcc, v1, v3
	v_addc_co_u32_e32 v2, vcc, v2, v4, vcc
	ds_write_b64 v5, v[1:2]
.LBB19_46:
	s_or_b64 exec, exec, s[0:1]
	s_waitcnt lgkmcnt(0)
	s_barrier
	v_cmp_eq_u32_e32 vcc, 0, v0
	s_and_saveexec_b64 s[0:1], vcc
	s_cbranch_execz .LBB19_19
.LBB19_47:
	v_mov_b32_e32 v2, 0
	ds_read_b64 v[0:1], v2
	s_ashr_i32 s7, s6, 31
	s_lshl_b64 s[0:1], s[6:7], 3
	s_add_u32 s0, s4, s0
	s_addc_u32 s1, s5, s1
	s_waitcnt lgkmcnt(0)
	global_store_dwordx2 v2, v[0:1], s[0:1]
	s_endpgm
	.section	.rodata,"a",@progbits
	.p2align	6, 0x0
	.amdhsa_kernel _ZN9rocsparseL14nnz_kernel_colILi256ElidEEv16rocsparse_order_T1_S2_PKT2_lPT0_
		.amdhsa_group_segment_fixed_size 2048
		.amdhsa_private_segment_fixed_size 0
		.amdhsa_kernarg_size 40
		.amdhsa_user_sgpr_count 6
		.amdhsa_user_sgpr_private_segment_buffer 1
		.amdhsa_user_sgpr_dispatch_ptr 0
		.amdhsa_user_sgpr_queue_ptr 0
		.amdhsa_user_sgpr_kernarg_segment_ptr 1
		.amdhsa_user_sgpr_dispatch_id 0
		.amdhsa_user_sgpr_flat_scratch_init 0
		.amdhsa_user_sgpr_private_segment_size 0
		.amdhsa_uses_dynamic_stack 0
		.amdhsa_system_sgpr_private_segment_wavefront_offset 0
		.amdhsa_system_sgpr_workgroup_id_x 1
		.amdhsa_system_sgpr_workgroup_id_y 0
		.amdhsa_system_sgpr_workgroup_id_z 0
		.amdhsa_system_sgpr_workgroup_info 0
		.amdhsa_system_vgpr_workitem_id 0
		.amdhsa_next_free_vgpr 20
		.amdhsa_next_free_sgpr 16
		.amdhsa_reserve_vcc 1
		.amdhsa_reserve_flat_scratch 0
		.amdhsa_float_round_mode_32 0
		.amdhsa_float_round_mode_16_64 0
		.amdhsa_float_denorm_mode_32 3
		.amdhsa_float_denorm_mode_16_64 3
		.amdhsa_dx10_clamp 1
		.amdhsa_ieee_mode 1
		.amdhsa_fp16_overflow 0
		.amdhsa_exception_fp_ieee_invalid_op 0
		.amdhsa_exception_fp_denorm_src 0
		.amdhsa_exception_fp_ieee_div_zero 0
		.amdhsa_exception_fp_ieee_overflow 0
		.amdhsa_exception_fp_ieee_underflow 0
		.amdhsa_exception_fp_ieee_inexact 0
		.amdhsa_exception_int_div_zero 0
	.end_amdhsa_kernel
	.section	.text._ZN9rocsparseL14nnz_kernel_colILi256ElidEEv16rocsparse_order_T1_S2_PKT2_lPT0_,"axG",@progbits,_ZN9rocsparseL14nnz_kernel_colILi256ElidEEv16rocsparse_order_T1_S2_PKT2_lPT0_,comdat
.Lfunc_end19:
	.size	_ZN9rocsparseL14nnz_kernel_colILi256ElidEEv16rocsparse_order_T1_S2_PKT2_lPT0_, .Lfunc_end19-_ZN9rocsparseL14nnz_kernel_colILi256ElidEEv16rocsparse_order_T1_S2_PKT2_lPT0_
                                        ; -- End function
	.set _ZN9rocsparseL14nnz_kernel_colILi256ElidEEv16rocsparse_order_T1_S2_PKT2_lPT0_.num_vgpr, 20
	.set _ZN9rocsparseL14nnz_kernel_colILi256ElidEEv16rocsparse_order_T1_S2_PKT2_lPT0_.num_agpr, 0
	.set _ZN9rocsparseL14nnz_kernel_colILi256ElidEEv16rocsparse_order_T1_S2_PKT2_lPT0_.numbered_sgpr, 16
	.set _ZN9rocsparseL14nnz_kernel_colILi256ElidEEv16rocsparse_order_T1_S2_PKT2_lPT0_.num_named_barrier, 0
	.set _ZN9rocsparseL14nnz_kernel_colILi256ElidEEv16rocsparse_order_T1_S2_PKT2_lPT0_.private_seg_size, 0
	.set _ZN9rocsparseL14nnz_kernel_colILi256ElidEEv16rocsparse_order_T1_S2_PKT2_lPT0_.uses_vcc, 1
	.set _ZN9rocsparseL14nnz_kernel_colILi256ElidEEv16rocsparse_order_T1_S2_PKT2_lPT0_.uses_flat_scratch, 0
	.set _ZN9rocsparseL14nnz_kernel_colILi256ElidEEv16rocsparse_order_T1_S2_PKT2_lPT0_.has_dyn_sized_stack, 0
	.set _ZN9rocsparseL14nnz_kernel_colILi256ElidEEv16rocsparse_order_T1_S2_PKT2_lPT0_.has_recursion, 0
	.set _ZN9rocsparseL14nnz_kernel_colILi256ElidEEv16rocsparse_order_T1_S2_PKT2_lPT0_.has_indirect_call, 0
	.section	.AMDGPU.csdata,"",@progbits
; Kernel info:
; codeLenInByte = 1436
; TotalNumSgprs: 20
; NumVgprs: 20
; ScratchSize: 0
; MemoryBound: 0
; FloatMode: 240
; IeeeMode: 1
; LDSByteSize: 2048 bytes/workgroup (compile time only)
; SGPRBlocks: 2
; VGPRBlocks: 4
; NumSGPRsForWavesPerEU: 20
; NumVGPRsForWavesPerEU: 20
; Occupancy: 10
; WaveLimiterHint : 0
; COMPUTE_PGM_RSRC2:SCRATCH_EN: 0
; COMPUTE_PGM_RSRC2:USER_SGPR: 6
; COMPUTE_PGM_RSRC2:TRAP_HANDLER: 0
; COMPUTE_PGM_RSRC2:TGID_X_EN: 1
; COMPUTE_PGM_RSRC2:TGID_Y_EN: 0
; COMPUTE_PGM_RSRC2:TGID_Z_EN: 0
; COMPUTE_PGM_RSRC2:TIDIG_COMP_CNT: 0
	.section	.text._ZN9rocsparseL14nnz_kernel_rowILi64ELi16Eli21rocsparse_complex_numIfEEEv16rocsparse_order_T2_S4_PKT3_lPT1_,"axG",@progbits,_ZN9rocsparseL14nnz_kernel_rowILi64ELi16Eli21rocsparse_complex_numIfEEEv16rocsparse_order_T2_S4_PKT3_lPT1_,comdat
	.globl	_ZN9rocsparseL14nnz_kernel_rowILi64ELi16Eli21rocsparse_complex_numIfEEEv16rocsparse_order_T2_S4_PKT3_lPT1_ ; -- Begin function _ZN9rocsparseL14nnz_kernel_rowILi64ELi16Eli21rocsparse_complex_numIfEEEv16rocsparse_order_T2_S4_PKT3_lPT1_
	.p2align	8
	.type	_ZN9rocsparseL14nnz_kernel_rowILi64ELi16Eli21rocsparse_complex_numIfEEEv16rocsparse_order_T2_S4_PKT3_lPT1_,@function
_ZN9rocsparseL14nnz_kernel_rowILi64ELi16Eli21rocsparse_complex_numIfEEEv16rocsparse_order_T2_S4_PKT3_lPT1_: ; @_ZN9rocsparseL14nnz_kernel_rowILi64ELi16Eli21rocsparse_complex_numIfEEEv16rocsparse_order_T2_S4_PKT3_lPT1_
; %bb.0:
	s_load_dword s0, s[4:5], 0x34
	s_load_dwordx2 s[34:35], s[4:5], 0x20
	s_load_dwordx8 s[24:31], s[4:5], 0x0
	s_waitcnt lgkmcnt(0)
	s_lshl_b32 s27, s6, 8
	s_and_b32 s0, s0, 0xffff
	v_mad_u32_u24 v22, v1, s0, v0
	s_ashr_i32 s0, s26, 31
	s_lshr_b32 s0, s0, 26
	v_and_b32_e32 v23, 63, v22
	s_add_i32 s33, s26, s0
	v_lshrrev_b32_e32 v0, 4, v22
	v_or_b32_e32 v18, s27, v23
	s_andn2_b32 s33, s33, 63
	v_and_b32_e32 v16, 0x7ffffc, v0
	v_mov_b32_e32 v0, 0
	v_cmp_gt_i32_e32 vcc, s33, v16
	v_mov_b32_e32 v1, v0
	v_mov_b32_e32 v2, v0
	;; [unrolled: 1-line block ×7, first 2 shown]
	v_or_b32_e32 v24, 64, v18
	s_and_saveexec_b64 s[36:37], vcc
	s_cbranch_execz .LBB20_28
; %bb.1:
	v_lshrrev_b32_e32 v1, 6, v22
	v_lshlrev_b32_e32 v13, 2, v1
	v_or_b32_e32 v4, 3, v13
	v_mad_u64_u32 v[2:3], s[0:1], s30, v4, 0
	v_or_b32_e32 v8, 2, v13
	v_add_u32_e32 v6, s27, v23
	v_mad_u64_u32 v[3:4], s[0:1], s31, v4, v[3:4]
	v_mad_u64_u32 v[4:5], s[0:1], s30, v8, 0
	;; [unrolled: 1-line block ×4, first 2 shown]
	v_mov_b32_e32 v9, s30
	v_mov_b32_e32 v10, s31
	v_mad_u64_u32 v[9:10], s[0:1], s30, v13, v[9:10]
	v_mov_b32_e32 v5, v8
	v_ashrrev_i32_e32 v7, 31, v6
	v_mov_b32_e32 v8, v10
	v_mad_u64_u32 v[13:14], s[0:1], s31, v13, v[8:9]
	v_mov_b32_e32 v8, v12
	v_mad_u64_u32 v[14:15], s[0:1], s31, v1, v[8:9]
	v_mov_b32_e32 v10, v13
	v_mul_lo_u32 v13, s30, v7
	v_lshlrev_b64 v[2:3], 3, v[2:3]
	v_lshlrev_b64 v[7:8], 3, v[6:7]
	v_mov_b32_e32 v12, v14
	v_add_co_u32_e32 v17, vcc, v2, v7
	v_addc_co_u32_e32 v19, vcc, v3, v8, vcc
	v_lshlrev_b64 v[2:3], 3, v[4:5]
	v_mad_u64_u32 v[4:5], s[0:1], s30, v6, 0
	v_add_co_u32_e32 v20, vcc, v2, v7
	v_addc_co_u32_e32 v21, vcc, v3, v8, vcc
	v_lshlrev_b64 v[2:3], 3, v[9:10]
	v_mul_lo_u32 v9, s31, v6
	v_add_co_u32_e32 v25, vcc, v2, v7
	v_addc_co_u32_e32 v26, vcc, v3, v8, vcc
	v_lshlrev_b64 v[2:3], 5, v[11:12]
	v_add3_u32 v5, v5, v13, v9
	v_add_co_u32_e32 v27, vcc, v2, v7
	v_add_u32_e32 v2, 64, v6
	v_addc_co_u32_e32 v28, vcc, v3, v8, vcc
	v_ashrrev_i32_e32 v3, 31, v2
	v_add_u32_e32 v7, 0x80, v6
	v_add_u32_e32 v6, 0xc0, v6
	v_mul_lo_u32 v11, s30, v3
	v_mul_lo_u32 v12, s31, v2
	v_mad_u64_u32 v[2:3], s[0:1], s30, v2, 0
	v_ashrrev_i32_e32 v9, 31, v6
	v_ashrrev_i32_e32 v8, 31, v7
	v_mul_lo_u32 v15, s30, v9
	v_mul_lo_u32 v29, s31, v6
	v_mad_u64_u32 v[9:10], s[0:1], s30, v6, 0
	v_mul_lo_u32 v13, s30, v8
	v_mul_lo_u32 v14, s31, v7
	v_mad_u64_u32 v[7:8], s[0:1], s30, v7, 0
	v_or_b32_e32 v6, 0x80, v18
	v_cmp_gt_i32_e64 s[0:1], s25, v6
	v_or_b32_e32 v6, 0xc0, v18
	v_lshlrev_b64 v[4:5], 3, v[4:5]
	v_add3_u32 v3, v3, v11, v12
	v_cmp_gt_i32_e64 s[2:3], s25, v6
	v_lshlrev_b32_e32 v6, 5, v1
	v_add3_u32 v10, v10, v15, v29
	v_add_co_u32_e32 v29, vcc, v4, v6
	v_lshlrev_b64 v[1:2], 3, v[2:3]
	v_addc_co_u32_e32 v30, vcc, 0, v5, vcc
	v_add3_u32 v8, v8, v13, v14
	v_add_co_u32_e32 v31, vcc, v1, v6
	v_addc_co_u32_e32 v32, vcc, 0, v2, vcc
	v_lshlrev_b64 v[1:2], 3, v[7:8]
	s_cmp_lg_u32 s24, 1
	v_add_co_u32_e32 v33, vcc, v1, v6
	v_addc_co_u32_e32 v34, vcc, 0, v2, vcc
	v_lshlrev_b64 v[1:2], 3, v[9:10]
	s_cselect_b64 s[38:39], -1, 0
	v_add_co_u32_e32 v35, vcc, v1, v6
	v_addc_co_u32_e32 v36, vcc, 0, v2, vcc
	v_cmp_gt_i32_e64 s[4:5], s25, v18
	v_cmp_gt_i32_e64 s[6:7], s25, v24
	s_lshl_b64 s[40:41], s[30:31], 9
	v_mov_b32_e32 v1, v0
	v_mov_b32_e32 v2, v0
	;; [unrolled: 1-line block ×7, first 2 shown]
	s_mov_b64 s[42:43], 0
	s_branch .LBB20_4
.LBB20_2:                               ;   in Loop: Header=BB20_4 Depth=1
	v_mov_b32_e32 v0, v8
	v_mov_b32_e32 v1, v9
	;; [unrolled: 1-line block ×8, first 2 shown]
.LBB20_3:                               ;   in Loop: Header=BB20_4 Depth=1
	s_or_b64 exec, exec, s[22:23]
	v_add_co_u32_e32 v29, vcc, 0x200, v29
	v_addc_co_u32_e32 v30, vcc, 0, v30, vcc
	v_mov_b32_e32 v8, s41
	v_add_co_u32_e32 v17, vcc, s40, v17
	v_addc_co_u32_e32 v19, vcc, v19, v8, vcc
	v_add_co_u32_e32 v31, vcc, 0x200, v31
	v_addc_co_u32_e32 v32, vcc, 0, v32, vcc
	;; [unrolled: 2-line block ×5, first 2 shown]
	v_add_co_u32_e32 v35, vcc, 0x200, v35
	v_add_u32_e32 v16, 64, v16
	v_addc_co_u32_e32 v36, vcc, 0, v36, vcc
	v_cmp_le_i32_e32 vcc, s33, v16
	s_or_b64 s[42:43], vcc, s[42:43]
	v_add_co_u32_e32 v27, vcc, s40, v27
	v_addc_co_u32_e32 v28, vcc, v28, v8, vcc
	s_andn2_b64 exec, exec, s[42:43]
	s_cbranch_execz .LBB20_27
.LBB20_4:                               ; =>This Inner Loop Header: Depth=1
	v_cndmask_b32_e64 v8, 0, 1, s[38:39]
	v_cmp_ne_u32_e64 s[8:9], 1, v8
	s_and_saveexec_b64 s[44:45], s[4:5]
	s_cbranch_execnz .LBB20_8
; %bb.5:                                ;   in Loop: Header=BB20_4 Depth=1
	s_or_b64 exec, exec, s[44:45]
	s_and_saveexec_b64 s[44:45], s[6:7]
	s_cbranch_execnz .LBB20_13
.LBB20_6:                               ;   in Loop: Header=BB20_4 Depth=1
	s_or_b64 exec, exec, s[44:45]
	s_and_saveexec_b64 s[44:45], s[0:1]
	s_cbranch_execnz .LBB20_18
.LBB20_7:                               ;   in Loop: Header=BB20_4 Depth=1
	s_or_b64 exec, exec, s[44:45]
	s_and_saveexec_b64 s[22:23], s[2:3]
	s_cbranch_execz .LBB20_3
	s_branch .LBB20_23
.LBB20_8:                               ;   in Loop: Header=BB20_4 Depth=1
	s_and_b64 vcc, exec, s[8:9]
	s_mov_b64 s[10:11], -1
                                        ; implicit-def: $vgpr8_vgpr9_vgpr10_vgpr11_vgpr12_vgpr13_vgpr14_vgpr15
	s_cbranch_vccnz .LBB20_10
; %bb.9:                                ;   in Loop: Header=BB20_4 Depth=1
	v_add_co_u32_e32 v12, vcc, s28, v29
	v_mov_b32_e32 v8, s29
	v_addc_co_u32_e32 v13, vcc, v8, v30, vcc
	global_load_dwordx4 v[8:11], v[12:13], off offset:16
	s_nop 0
	global_load_dwordx4 v[12:15], v[12:13], off
	s_waitcnt vmcnt(0)
	v_cmp_neq_f32_e32 vcc, 0, v12
	v_cmp_neq_f32_e64 s[10:11], 0, v13
	s_or_b64 vcc, vcc, s[10:11]
	v_add_co_u32_e64 v12, s[10:11], 1, v0
	v_addc_co_u32_e64 v13, s[10:11], 0, v1, s[10:11]
	v_cndmask_b32_e32 v13, v1, v13, vcc
	v_cndmask_b32_e32 v12, v0, v12, vcc
	v_cmp_neq_f32_e32 vcc, 0, v14
	v_cmp_neq_f32_e64 s[10:11], 0, v15
	s_or_b64 vcc, vcc, s[10:11]
	v_add_co_u32_e64 v14, s[10:11], 1, v12
	v_addc_co_u32_e64 v15, s[10:11], 0, v13, s[10:11]
	v_cndmask_b32_e32 v13, v13, v15, vcc
	v_cndmask_b32_e32 v12, v12, v14, vcc
	;; [unrolled: 7-line block ×4, first 2 shown]
	v_mov_b32_e32 v10, v2
	v_mov_b32_e32 v11, v3
	;; [unrolled: 1-line block ×6, first 2 shown]
	s_mov_b64 s[10:11], 0
.LBB20_10:                              ;   in Loop: Header=BB20_4 Depth=1
	s_andn2_b64 vcc, exec, s[10:11]
	s_cbranch_vccnz .LBB20_12
; %bb.11:                               ;   in Loop: Header=BB20_4 Depth=1
	v_mov_b32_e32 v9, s29
	v_add_co_u32_e32 v8, vcc, s28, v27
	v_addc_co_u32_e32 v9, vcc, v9, v28, vcc
	v_mov_b32_e32 v11, s29
	v_add_co_u32_e32 v10, vcc, s28, v25
	v_addc_co_u32_e32 v11, vcc, v11, v26, vcc
	;; [unrolled: 3-line block ×3, first 2 shown]
	global_load_dwordx2 v[8:9], v[8:9], off
	s_nop 0
	global_load_dwordx2 v[10:11], v[10:11], off
	s_nop 0
	global_load_dwordx2 v[12:13], v[12:13], off
	v_mov_b32_e32 v15, s29
	v_add_co_u32_e32 v14, vcc, s28, v17
	v_addc_co_u32_e32 v15, vcc, v15, v19, vcc
	global_load_dwordx2 v[14:15], v[14:15], off
	v_add_co_u32_e32 v37, vcc, 1, v0
	v_addc_co_u32_e32 v38, vcc, 0, v1, vcc
	s_waitcnt vmcnt(3)
	v_cmp_neq_f32_e32 vcc, 0, v8
	v_cmp_neq_f32_e64 s[10:11], 0, v9
	s_or_b64 vcc, vcc, s[10:11]
	v_cndmask_b32_e32 v0, v0, v37, vcc
	v_cndmask_b32_e32 v1, v1, v38, vcc
	v_add_co_u32_e32 v8, vcc, 1, v0
	s_waitcnt vmcnt(2)
	v_cmp_neq_f32_e64 s[12:13], 0, v10
	v_cmp_neq_f32_e64 s[14:15], 0, v11
	v_addc_co_u32_e32 v9, vcc, 0, v1, vcc
	s_or_b64 vcc, s[12:13], s[14:15]
	v_cndmask_b32_e32 v0, v0, v8, vcc
	v_cndmask_b32_e32 v1, v1, v9, vcc
	v_add_co_u32_e32 v8, vcc, 1, v0
	s_waitcnt vmcnt(1)
	v_cmp_neq_f32_e64 s[16:17], 0, v12
	v_cmp_neq_f32_e64 s[18:19], 0, v13
	v_addc_co_u32_e32 v9, vcc, 0, v1, vcc
	s_or_b64 vcc, s[16:17], s[18:19]
	v_cndmask_b32_e32 v0, v0, v8, vcc
	v_cndmask_b32_e32 v1, v1, v9, vcc
	v_add_co_u32_e32 v8, vcc, 1, v0
	s_waitcnt vmcnt(0)
	v_cmp_neq_f32_e64 s[20:21], 0, v14
	v_cmp_neq_f32_e64 s[22:23], 0, v15
	v_addc_co_u32_e32 v9, vcc, 0, v1, vcc
	s_or_b64 vcc, s[20:21], s[22:23]
	v_cndmask_b32_e32 v1, v1, v9, vcc
	v_cndmask_b32_e32 v0, v0, v8, vcc
	v_mov_b32_e32 v15, v7
	v_mov_b32_e32 v14, v6
	;; [unrolled: 1-line block ×8, first 2 shown]
.LBB20_12:                              ;   in Loop: Header=BB20_4 Depth=1
	v_mov_b32_e32 v0, v8
	v_mov_b32_e32 v1, v9
	;; [unrolled: 1-line block ×8, first 2 shown]
	s_or_b64 exec, exec, s[44:45]
	s_and_saveexec_b64 s[44:45], s[6:7]
	s_cbranch_execz .LBB20_6
.LBB20_13:                              ;   in Loop: Header=BB20_4 Depth=1
	s_and_b64 vcc, exec, s[8:9]
	s_mov_b64 s[10:11], -1
                                        ; implicit-def: $vgpr8_vgpr9_vgpr10_vgpr11_vgpr12_vgpr13_vgpr14_vgpr15
	s_cbranch_vccnz .LBB20_15
; %bb.14:                               ;   in Loop: Header=BB20_4 Depth=1
	v_add_co_u32_e32 v12, vcc, s28, v31
	v_mov_b32_e32 v8, s29
	v_addc_co_u32_e32 v13, vcc, v8, v32, vcc
	global_load_dwordx4 v[8:11], v[12:13], off offset:16
	s_nop 0
	global_load_dwordx4 v[12:15], v[12:13], off
	s_waitcnt vmcnt(0)
	v_cmp_neq_f32_e32 vcc, 0, v12
	v_cmp_neq_f32_e64 s[10:11], 0, v13
	s_or_b64 vcc, vcc, s[10:11]
	v_add_co_u32_e64 v12, s[10:11], 1, v2
	v_addc_co_u32_e64 v13, s[10:11], 0, v3, s[10:11]
	v_cndmask_b32_e32 v13, v3, v13, vcc
	v_cndmask_b32_e32 v12, v2, v12, vcc
	v_cmp_neq_f32_e32 vcc, 0, v14
	v_cmp_neq_f32_e64 s[10:11], 0, v15
	s_or_b64 vcc, vcc, s[10:11]
	v_add_co_u32_e64 v14, s[10:11], 1, v12
	v_addc_co_u32_e64 v15, s[10:11], 0, v13, s[10:11]
	v_cndmask_b32_e32 v13, v13, v15, vcc
	v_cndmask_b32_e32 v12, v12, v14, vcc
	;; [unrolled: 7-line block ×4, first 2 shown]
	v_mov_b32_e32 v8, v0
	v_mov_b32_e32 v9, v1
	v_mov_b32_e32 v12, v4
	v_mov_b32_e32 v13, v5
	v_mov_b32_e32 v14, v6
	v_mov_b32_e32 v15, v7
	s_mov_b64 s[10:11], 0
.LBB20_15:                              ;   in Loop: Header=BB20_4 Depth=1
	s_andn2_b64 vcc, exec, s[10:11]
	s_cbranch_vccnz .LBB20_17
; %bb.16:                               ;   in Loop: Header=BB20_4 Depth=1
	v_mov_b32_e32 v9, s29
	v_add_co_u32_e32 v8, vcc, s28, v27
	v_addc_co_u32_e32 v9, vcc, v9, v28, vcc
	v_mov_b32_e32 v11, s29
	v_add_co_u32_e32 v10, vcc, s28, v25
	v_addc_co_u32_e32 v11, vcc, v11, v26, vcc
	;; [unrolled: 3-line block ×3, first 2 shown]
	global_load_dwordx2 v[8:9], v[8:9], off offset:512
	s_nop 0
	global_load_dwordx2 v[10:11], v[10:11], off offset:512
	s_nop 0
	global_load_dwordx2 v[12:13], v[12:13], off offset:512
	v_mov_b32_e32 v15, s29
	v_add_co_u32_e32 v14, vcc, s28, v17
	v_addc_co_u32_e32 v15, vcc, v15, v19, vcc
	global_load_dwordx2 v[14:15], v[14:15], off offset:512
	v_add_co_u32_e32 v37, vcc, 1, v2
	v_addc_co_u32_e32 v38, vcc, 0, v3, vcc
	s_waitcnt vmcnt(3)
	v_cmp_neq_f32_e32 vcc, 0, v8
	v_cmp_neq_f32_e64 s[10:11], 0, v9
	s_or_b64 vcc, vcc, s[10:11]
	v_cndmask_b32_e32 v2, v2, v37, vcc
	v_cndmask_b32_e32 v3, v3, v38, vcc
	v_add_co_u32_e32 v8, vcc, 1, v2
	s_waitcnt vmcnt(2)
	v_cmp_neq_f32_e64 s[12:13], 0, v10
	v_cmp_neq_f32_e64 s[14:15], 0, v11
	v_addc_co_u32_e32 v9, vcc, 0, v3, vcc
	s_or_b64 vcc, s[12:13], s[14:15]
	v_cndmask_b32_e32 v2, v2, v8, vcc
	v_cndmask_b32_e32 v3, v3, v9, vcc
	v_add_co_u32_e32 v8, vcc, 1, v2
	s_waitcnt vmcnt(1)
	v_cmp_neq_f32_e64 s[16:17], 0, v12
	v_cmp_neq_f32_e64 s[18:19], 0, v13
	v_addc_co_u32_e32 v9, vcc, 0, v3, vcc
	s_or_b64 vcc, s[16:17], s[18:19]
	;; [unrolled: 8-line block ×3, first 2 shown]
	v_cndmask_b32_e32 v3, v3, v9, vcc
	v_cndmask_b32_e32 v2, v2, v8, vcc
	v_mov_b32_e32 v15, v7
	v_mov_b32_e32 v14, v6
	;; [unrolled: 1-line block ×8, first 2 shown]
.LBB20_17:                              ;   in Loop: Header=BB20_4 Depth=1
	v_mov_b32_e32 v0, v8
	v_mov_b32_e32 v1, v9
	;; [unrolled: 1-line block ×8, first 2 shown]
	s_or_b64 exec, exec, s[44:45]
	s_and_saveexec_b64 s[44:45], s[0:1]
	s_cbranch_execz .LBB20_7
.LBB20_18:                              ;   in Loop: Header=BB20_4 Depth=1
	s_and_b64 vcc, exec, s[8:9]
	s_mov_b64 s[10:11], -1
                                        ; implicit-def: $vgpr8_vgpr9_vgpr10_vgpr11_vgpr12_vgpr13_vgpr14_vgpr15
	s_cbranch_vccnz .LBB20_20
; %bb.19:                               ;   in Loop: Header=BB20_4 Depth=1
	v_add_co_u32_e32 v12, vcc, s28, v33
	v_mov_b32_e32 v8, s29
	v_addc_co_u32_e32 v13, vcc, v8, v34, vcc
	global_load_dwordx4 v[8:11], v[12:13], off offset:16
	s_nop 0
	global_load_dwordx4 v[12:15], v[12:13], off
	s_waitcnt vmcnt(0)
	v_cmp_neq_f32_e32 vcc, 0, v12
	v_cmp_neq_f32_e64 s[10:11], 0, v13
	s_or_b64 vcc, vcc, s[10:11]
	v_add_co_u32_e64 v12, s[10:11], 1, v4
	v_addc_co_u32_e64 v13, s[10:11], 0, v5, s[10:11]
	v_cndmask_b32_e32 v13, v5, v13, vcc
	v_cndmask_b32_e32 v12, v4, v12, vcc
	v_cmp_neq_f32_e32 vcc, 0, v14
	v_cmp_neq_f32_e64 s[10:11], 0, v15
	s_or_b64 vcc, vcc, s[10:11]
	v_add_co_u32_e64 v14, s[10:11], 1, v12
	v_addc_co_u32_e64 v15, s[10:11], 0, v13, s[10:11]
	v_cndmask_b32_e32 v13, v13, v15, vcc
	v_cndmask_b32_e32 v12, v12, v14, vcc
	;; [unrolled: 7-line block ×4, first 2 shown]
	v_mov_b32_e32 v8, v0
	v_mov_b32_e32 v9, v1
	;; [unrolled: 1-line block ×6, first 2 shown]
	s_mov_b64 s[10:11], 0
.LBB20_20:                              ;   in Loop: Header=BB20_4 Depth=1
	s_andn2_b64 vcc, exec, s[10:11]
	s_cbranch_vccnz .LBB20_22
; %bb.21:                               ;   in Loop: Header=BB20_4 Depth=1
	v_mov_b32_e32 v9, s29
	v_add_co_u32_e32 v8, vcc, s28, v27
	v_addc_co_u32_e32 v9, vcc, v9, v28, vcc
	v_mov_b32_e32 v11, s29
	v_add_co_u32_e32 v10, vcc, s28, v25
	v_addc_co_u32_e32 v11, vcc, v11, v26, vcc
	;; [unrolled: 3-line block ×3, first 2 shown]
	global_load_dwordx2 v[8:9], v[8:9], off offset:1024
	s_nop 0
	global_load_dwordx2 v[10:11], v[10:11], off offset:1024
	s_nop 0
	global_load_dwordx2 v[12:13], v[12:13], off offset:1024
	v_mov_b32_e32 v15, s29
	v_add_co_u32_e32 v14, vcc, s28, v17
	v_addc_co_u32_e32 v15, vcc, v15, v19, vcc
	global_load_dwordx2 v[14:15], v[14:15], off offset:1024
	v_add_co_u32_e32 v37, vcc, 1, v4
	v_addc_co_u32_e32 v38, vcc, 0, v5, vcc
	s_waitcnt vmcnt(3)
	v_cmp_neq_f32_e32 vcc, 0, v8
	v_cmp_neq_f32_e64 s[10:11], 0, v9
	s_or_b64 vcc, vcc, s[10:11]
	v_cndmask_b32_e32 v4, v4, v37, vcc
	v_cndmask_b32_e32 v5, v5, v38, vcc
	v_add_co_u32_e32 v8, vcc, 1, v4
	s_waitcnt vmcnt(2)
	v_cmp_neq_f32_e64 s[12:13], 0, v10
	v_cmp_neq_f32_e64 s[14:15], 0, v11
	v_addc_co_u32_e32 v9, vcc, 0, v5, vcc
	s_or_b64 vcc, s[12:13], s[14:15]
	v_cndmask_b32_e32 v4, v4, v8, vcc
	v_cndmask_b32_e32 v5, v5, v9, vcc
	v_add_co_u32_e32 v8, vcc, 1, v4
	s_waitcnt vmcnt(1)
	v_cmp_neq_f32_e64 s[16:17], 0, v12
	v_cmp_neq_f32_e64 s[18:19], 0, v13
	v_addc_co_u32_e32 v9, vcc, 0, v5, vcc
	s_or_b64 vcc, s[16:17], s[18:19]
	;; [unrolled: 8-line block ×3, first 2 shown]
	v_cndmask_b32_e32 v5, v5, v9, vcc
	v_cndmask_b32_e32 v4, v4, v8, vcc
	v_mov_b32_e32 v15, v7
	v_mov_b32_e32 v14, v6
	;; [unrolled: 1-line block ×8, first 2 shown]
.LBB20_22:                              ;   in Loop: Header=BB20_4 Depth=1
	v_mov_b32_e32 v0, v8
	v_mov_b32_e32 v1, v9
	;; [unrolled: 1-line block ×8, first 2 shown]
	s_or_b64 exec, exec, s[44:45]
	s_and_saveexec_b64 s[22:23], s[2:3]
	s_cbranch_execz .LBB20_3
.LBB20_23:                              ;   in Loop: Header=BB20_4 Depth=1
	s_and_b64 vcc, exec, s[8:9]
	s_mov_b64 s[8:9], -1
                                        ; implicit-def: $vgpr8_vgpr9_vgpr10_vgpr11_vgpr12_vgpr13_vgpr14_vgpr15
	s_cbranch_vccnz .LBB20_25
; %bb.24:                               ;   in Loop: Header=BB20_4 Depth=1
	v_add_co_u32_e32 v12, vcc, s28, v35
	v_mov_b32_e32 v8, s29
	v_addc_co_u32_e32 v13, vcc, v8, v36, vcc
	global_load_dwordx4 v[8:11], v[12:13], off offset:16
	s_nop 0
	global_load_dwordx4 v[12:15], v[12:13], off
	s_waitcnt vmcnt(0)
	v_cmp_neq_f32_e32 vcc, 0, v12
	v_cmp_neq_f32_e64 s[8:9], 0, v13
	s_or_b64 vcc, vcc, s[8:9]
	v_add_co_u32_e64 v12, s[8:9], 1, v6
	v_addc_co_u32_e64 v13, s[8:9], 0, v7, s[8:9]
	v_cndmask_b32_e32 v13, v7, v13, vcc
	v_cndmask_b32_e32 v12, v6, v12, vcc
	v_cmp_neq_f32_e32 vcc, 0, v14
	v_cmp_neq_f32_e64 s[8:9], 0, v15
	s_or_b64 vcc, vcc, s[8:9]
	v_add_co_u32_e64 v14, s[8:9], 1, v12
	v_addc_co_u32_e64 v15, s[8:9], 0, v13, s[8:9]
	v_cndmask_b32_e32 v13, v13, v15, vcc
	v_cndmask_b32_e32 v12, v12, v14, vcc
	;; [unrolled: 7-line block ×4, first 2 shown]
	v_mov_b32_e32 v8, v0
	v_mov_b32_e32 v9, v1
	;; [unrolled: 1-line block ×6, first 2 shown]
	s_mov_b64 s[8:9], 0
.LBB20_25:                              ;   in Loop: Header=BB20_4 Depth=1
	s_andn2_b64 vcc, exec, s[8:9]
	s_cbranch_vccnz .LBB20_2
; %bb.26:                               ;   in Loop: Header=BB20_4 Depth=1
	v_mov_b32_e32 v9, s29
	v_add_co_u32_e32 v8, vcc, s28, v27
	v_addc_co_u32_e32 v9, vcc, v9, v28, vcc
	v_mov_b32_e32 v11, s29
	v_add_co_u32_e32 v10, vcc, s28, v25
	v_addc_co_u32_e32 v11, vcc, v11, v26, vcc
	;; [unrolled: 3-line block ×3, first 2 shown]
	global_load_dwordx2 v[8:9], v[8:9], off offset:1536
	s_nop 0
	global_load_dwordx2 v[10:11], v[10:11], off offset:1536
	s_nop 0
	global_load_dwordx2 v[12:13], v[12:13], off offset:1536
	v_mov_b32_e32 v15, s29
	v_add_co_u32_e32 v14, vcc, s28, v17
	v_addc_co_u32_e32 v15, vcc, v15, v19, vcc
	global_load_dwordx2 v[14:15], v[14:15], off offset:1536
	v_add_co_u32_e32 v37, vcc, 1, v6
	v_addc_co_u32_e32 v38, vcc, 0, v7, vcc
	s_waitcnt vmcnt(3)
	v_cmp_neq_f32_e32 vcc, 0, v8
	v_cmp_neq_f32_e64 s[8:9], 0, v9
	s_or_b64 vcc, vcc, s[8:9]
	v_cndmask_b32_e32 v6, v6, v37, vcc
	v_cndmask_b32_e32 v7, v7, v38, vcc
	v_add_co_u32_e32 v8, vcc, 1, v6
	s_waitcnt vmcnt(2)
	v_cmp_neq_f32_e64 s[10:11], 0, v10
	v_cmp_neq_f32_e64 s[12:13], 0, v11
	v_addc_co_u32_e32 v9, vcc, 0, v7, vcc
	s_or_b64 vcc, s[10:11], s[12:13]
	v_cndmask_b32_e32 v6, v6, v8, vcc
	v_cndmask_b32_e32 v7, v7, v9, vcc
	v_add_co_u32_e32 v8, vcc, 1, v6
	s_waitcnt vmcnt(1)
	v_cmp_neq_f32_e64 s[14:15], 0, v12
	v_cmp_neq_f32_e64 s[16:17], 0, v13
	v_addc_co_u32_e32 v9, vcc, 0, v7, vcc
	s_or_b64 vcc, s[14:15], s[16:17]
	;; [unrolled: 8-line block ×3, first 2 shown]
	v_cndmask_b32_e32 v7, v7, v9, vcc
	v_cndmask_b32_e32 v6, v6, v8, vcc
	v_mov_b32_e32 v15, v7
	v_mov_b32_e32 v14, v6
	;; [unrolled: 1-line block ×8, first 2 shown]
	s_branch .LBB20_2
.LBB20_27:
	s_or_b64 exec, exec, s[42:43]
.LBB20_28:
	s_or_b64 exec, exec, s[36:37]
	s_sub_i32 s0, s26, s33
	s_cmp_lt_i32 s0, 1
	s_cbranch_scc1 .LBB20_126
; %bb.29:
	v_mov_b32_e32 v17, 0
	v_lshlrev_b64 v[8:9], 3, v[16:17]
	s_cmp_eq_u32 s24, 1
	v_mov_b32_e32 v10, s29
	v_add_co_u32_e32 v17, vcc, s28, v8
	s_cselect_b64 s[4:5], -1, 0
	s_cmp_lg_u32 s24, 1
	v_addc_co_u32_e32 v25, vcc, v10, v9, vcc
	s_cselect_b64 s[2:3], -1, 0
	v_cmp_gt_i32_e32 vcc, s25, v18
	v_ashrrev_i32_e32 v19, 31, v18
	s_and_saveexec_b64 s[6:7], vcc
	s_cbranch_execz .LBB20_53
; %bb.30:
	v_mul_lo_u32 v10, s31, v18
	v_mul_lo_u32 v11, s30, v19
	v_mad_u64_u32 v[8:9], s[0:1], s30, v18, 0
	v_add3_u32 v9, v9, v11, v10
	v_lshlrev_b64 v[8:9], 3, v[8:9]
	v_mov_b32_e32 v10, s29
	v_add_co_u32_e32 v20, vcc, v17, v8
	v_addc_co_u32_e32 v21, vcc, v25, v9, vcc
	v_lshlrev_b64 v[8:9], 3, v[18:19]
	v_add_co_u32_e32 v26, vcc, s28, v8
	v_addc_co_u32_e32 v27, vcc, v10, v9, vcc
	v_cmp_gt_i32_e32 vcc, s26, v16
	s_and_saveexec_b64 s[8:9], vcc
	s_cbranch_execz .LBB20_34
; %bb.31:
	v_mov_b32_e32 v8, v20
	s_andn2_b64 vcc, exec, s[4:5]
	v_mov_b32_e32 v9, v21
	s_cbranch_vccnz .LBB20_33
; %bb.32:
	v_mad_u64_u32 v[8:9], s[0:1], s30, v16, 0
	v_mad_u64_u32 v[9:10], s[0:1], s31, v16, v[9:10]
	v_lshlrev_b64 v[8:9], 3, v[8:9]
	v_add_co_u32_e32 v8, vcc, v26, v8
	v_addc_co_u32_e32 v9, vcc, v27, v9, vcc
.LBB20_33:
	global_load_dwordx2 v[8:9], v[8:9], off
	s_waitcnt vmcnt(0)
	v_cmp_neq_f32_e32 vcc, 0, v8
	v_cmp_neq_f32_e64 s[0:1], 0, v9
	s_or_b64 s[0:1], vcc, s[0:1]
	v_cndmask_b32_e64 v8, 0, 1, s[0:1]
	v_add_co_u32_e32 v0, vcc, v0, v8
	v_addc_co_u32_e32 v1, vcc, 0, v1, vcc
.LBB20_34:
	s_or_b64 exec, exec, s[8:9]
	v_or_b32_e32 v28, 1, v16
	v_cmp_gt_i32_e32 vcc, s26, v28
	s_and_saveexec_b64 s[8:9], vcc
	s_cbranch_execz .LBB20_40
; %bb.35:
	s_andn2_b64 vcc, exec, s[2:3]
	s_cbranch_vccnz .LBB20_37
; %bb.36:
	global_load_dwordx2 v[29:30], v[20:21], off offset:8
	v_mov_b32_e32 v15, v7
	v_mov_b32_e32 v8, v0
	v_mov_b32_e32 v9, v1
	v_mov_b32_e32 v14, v6
	v_mov_b32_e32 v13, v5
	v_mov_b32_e32 v12, v4
	v_mov_b32_e32 v11, v3
	v_mov_b32_e32 v10, v2
	s_waitcnt vmcnt(0)
	v_cmp_neq_f32_e32 vcc, 0, v29
	v_cmp_neq_f32_e64 s[0:1], 0, v30
	s_or_b64 s[0:1], vcc, s[0:1]
	v_cndmask_b32_e64 v8, 0, 1, s[0:1]
	v_add_co_u32_e32 v8, vcc, v0, v8
	v_addc_co_u32_e32 v9, vcc, 0, v1, vcc
	s_cbranch_execz .LBB20_38
	s_branch .LBB20_39
.LBB20_37:
                                        ; implicit-def: $vgpr8_vgpr9_vgpr10_vgpr11_vgpr12_vgpr13_vgpr14_vgpr15
.LBB20_38:
	v_mad_u64_u32 v[8:9], s[0:1], s30, v28, 0
	v_mad_u64_u32 v[9:10], s[0:1], s31, v28, v[9:10]
	v_lshlrev_b64 v[8:9], 3, v[8:9]
	v_add_co_u32_e32 v8, vcc, v26, v8
	v_addc_co_u32_e32 v9, vcc, v27, v9, vcc
	global_load_dwordx2 v[8:9], v[8:9], off
	s_waitcnt vmcnt(0)
	v_cmp_neq_f32_e32 vcc, 0, v8
	v_cmp_neq_f32_e64 s[0:1], 0, v9
	s_or_b64 s[0:1], vcc, s[0:1]
	v_cndmask_b32_e64 v8, 0, 1, s[0:1]
	v_add_co_u32_e32 v0, vcc, v0, v8
	v_addc_co_u32_e32 v1, vcc, 0, v1, vcc
	v_mov_b32_e32 v15, v7
	v_mov_b32_e32 v14, v6
	v_mov_b32_e32 v13, v5
	v_mov_b32_e32 v12, v4
	v_mov_b32_e32 v11, v3
	v_mov_b32_e32 v10, v2
	v_mov_b32_e32 v9, v1
	v_mov_b32_e32 v8, v0
.LBB20_39:
	v_mov_b32_e32 v0, v8
	v_mov_b32_e32 v1, v9
	v_mov_b32_e32 v2, v10
	v_mov_b32_e32 v3, v11
	v_mov_b32_e32 v4, v12
	v_mov_b32_e32 v5, v13
	v_mov_b32_e32 v6, v14
	v_mov_b32_e32 v7, v15
.LBB20_40:
	s_or_b64 exec, exec, s[8:9]
	v_or_b32_e32 v28, 2, v16
	v_cmp_gt_i32_e32 vcc, s26, v28
	s_and_saveexec_b64 s[8:9], vcc
	s_cbranch_execz .LBB20_46
; %bb.41:
	s_andn2_b64 vcc, exec, s[2:3]
	s_cbranch_vccnz .LBB20_43
; %bb.42:
	global_load_dwordx2 v[29:30], v[20:21], off offset:16
	v_mov_b32_e32 v15, v7
	v_mov_b32_e32 v8, v0
	v_mov_b32_e32 v9, v1
	v_mov_b32_e32 v14, v6
	v_mov_b32_e32 v13, v5
	v_mov_b32_e32 v12, v4
	v_mov_b32_e32 v11, v3
	v_mov_b32_e32 v10, v2
	s_waitcnt vmcnt(0)
	v_cmp_neq_f32_e32 vcc, 0, v29
	v_cmp_neq_f32_e64 s[0:1], 0, v30
	s_or_b64 s[0:1], vcc, s[0:1]
	v_cndmask_b32_e64 v8, 0, 1, s[0:1]
	v_add_co_u32_e32 v8, vcc, v0, v8
	v_addc_co_u32_e32 v9, vcc, 0, v1, vcc
	s_cbranch_execz .LBB20_44
	s_branch .LBB20_45
.LBB20_43:
                                        ; implicit-def: $vgpr8_vgpr9_vgpr10_vgpr11_vgpr12_vgpr13_vgpr14_vgpr15
.LBB20_44:
	v_mad_u64_u32 v[8:9], s[0:1], s30, v28, 0
	v_mad_u64_u32 v[9:10], s[0:1], s31, v28, v[9:10]
	v_lshlrev_b64 v[8:9], 3, v[8:9]
	v_add_co_u32_e32 v8, vcc, v26, v8
	v_addc_co_u32_e32 v9, vcc, v27, v9, vcc
	global_load_dwordx2 v[8:9], v[8:9], off
	s_waitcnt vmcnt(0)
	v_cmp_neq_f32_e32 vcc, 0, v8
	v_cmp_neq_f32_e64 s[0:1], 0, v9
	s_or_b64 s[0:1], vcc, s[0:1]
	v_cndmask_b32_e64 v8, 0, 1, s[0:1]
	v_add_co_u32_e32 v0, vcc, v0, v8
	v_addc_co_u32_e32 v1, vcc, 0, v1, vcc
	v_mov_b32_e32 v15, v7
	v_mov_b32_e32 v14, v6
	v_mov_b32_e32 v13, v5
	v_mov_b32_e32 v12, v4
	v_mov_b32_e32 v11, v3
	v_mov_b32_e32 v10, v2
	v_mov_b32_e32 v9, v1
	v_mov_b32_e32 v8, v0
.LBB20_45:
	v_mov_b32_e32 v0, v8
	v_mov_b32_e32 v1, v9
	v_mov_b32_e32 v2, v10
	v_mov_b32_e32 v3, v11
	v_mov_b32_e32 v4, v12
	v_mov_b32_e32 v5, v13
	v_mov_b32_e32 v6, v14
	v_mov_b32_e32 v7, v15
.LBB20_46:
	;; [unrolled: 61-line block ×3, first 2 shown]
	s_or_b64 exec, exec, s[8:9]
.LBB20_53:
	s_or_b64 exec, exec, s[6:7]
	v_cmp_gt_i32_e32 vcc, s25, v24
	s_and_saveexec_b64 s[6:7], vcc
	s_cbranch_execz .LBB20_77
; %bb.54:
	v_ashrrev_i32_e32 v10, 31, v24
	v_mul_lo_u32 v11, s31, v24
	v_mad_u64_u32 v[8:9], s[0:1], s30, v24, 0
	v_mul_lo_u32 v10, s30, v10
	v_add3_u32 v9, v9, v10, v11
	v_lshlrev_b64 v[8:9], 3, v[8:9]
	v_mov_b32_e32 v10, s29
	v_add_co_u32_e32 v20, vcc, v17, v8
	v_addc_co_u32_e32 v21, vcc, v25, v9, vcc
	v_lshlrev_b64 v[8:9], 3, v[18:19]
	v_add_co_u32_e32 v24, vcc, s28, v8
	v_addc_co_u32_e32 v26, vcc, v10, v9, vcc
	v_cmp_gt_i32_e32 vcc, s26, v16
	s_and_saveexec_b64 s[8:9], vcc
	s_cbranch_execz .LBB20_58
; %bb.55:
	v_mov_b32_e32 v8, v20
	s_andn2_b64 vcc, exec, s[4:5]
	v_mov_b32_e32 v9, v21
	s_cbranch_vccnz .LBB20_57
; %bb.56:
	v_mad_u64_u32 v[8:9], s[0:1], s30, v16, 0
	v_mad_u64_u32 v[9:10], s[0:1], s31, v16, v[9:10]
	v_lshlrev_b64 v[8:9], 3, v[8:9]
	v_add_co_u32_e32 v8, vcc, v24, v8
	v_addc_co_u32_e32 v9, vcc, v26, v9, vcc
	v_add_co_u32_e32 v8, vcc, 0x200, v8
	v_addc_co_u32_e32 v9, vcc, 0, v9, vcc
.LBB20_57:
	global_load_dwordx2 v[8:9], v[8:9], off
	s_waitcnt vmcnt(0)
	v_cmp_neq_f32_e32 vcc, 0, v8
	v_cmp_neq_f32_e64 s[0:1], 0, v9
	s_or_b64 s[0:1], vcc, s[0:1]
	v_cndmask_b32_e64 v8, 0, 1, s[0:1]
	v_add_co_u32_e32 v2, vcc, v2, v8
	v_addc_co_u32_e32 v3, vcc, 0, v3, vcc
.LBB20_58:
	s_or_b64 exec, exec, s[8:9]
	v_or_b32_e32 v27, 1, v16
	v_cmp_gt_i32_e32 vcc, s26, v27
	s_and_saveexec_b64 s[8:9], vcc
	s_cbranch_execz .LBB20_64
; %bb.59:
	s_andn2_b64 vcc, exec, s[2:3]
	s_cbranch_vccnz .LBB20_61
; %bb.60:
	global_load_dwordx2 v[28:29], v[20:21], off offset:8
	v_mov_b32_e32 v15, v7
	v_mov_b32_e32 v10, v2
	v_mov_b32_e32 v11, v3
	v_mov_b32_e32 v14, v6
	v_mov_b32_e32 v13, v5
	v_mov_b32_e32 v12, v4
	v_mov_b32_e32 v9, v1
	v_mov_b32_e32 v8, v0
	s_waitcnt vmcnt(0)
	v_cmp_neq_f32_e32 vcc, 0, v28
	v_cmp_neq_f32_e64 s[0:1], 0, v29
	s_or_b64 s[0:1], vcc, s[0:1]
	v_cndmask_b32_e64 v10, 0, 1, s[0:1]
	v_add_co_u32_e32 v10, vcc, v2, v10
	v_addc_co_u32_e32 v11, vcc, 0, v3, vcc
	s_cbranch_execz .LBB20_62
	s_branch .LBB20_63
.LBB20_61:
                                        ; implicit-def: $vgpr8_vgpr9_vgpr10_vgpr11_vgpr12_vgpr13_vgpr14_vgpr15
.LBB20_62:
	v_mad_u64_u32 v[8:9], s[0:1], s30, v27, 0
	v_mad_u64_u32 v[9:10], s[0:1], s31, v27, v[9:10]
	v_lshlrev_b64 v[8:9], 3, v[8:9]
	v_add_co_u32_e32 v8, vcc, v24, v8
	v_addc_co_u32_e32 v9, vcc, v26, v9, vcc
	global_load_dwordx2 v[8:9], v[8:9], off offset:512
	s_waitcnt vmcnt(0)
	v_cmp_neq_f32_e32 vcc, 0, v8
	v_cmp_neq_f32_e64 s[0:1], 0, v9
	s_or_b64 s[0:1], vcc, s[0:1]
	v_cndmask_b32_e64 v8, 0, 1, s[0:1]
	v_add_co_u32_e32 v2, vcc, v2, v8
	v_addc_co_u32_e32 v3, vcc, 0, v3, vcc
	v_mov_b32_e32 v15, v7
	v_mov_b32_e32 v14, v6
	v_mov_b32_e32 v13, v5
	v_mov_b32_e32 v12, v4
	v_mov_b32_e32 v11, v3
	v_mov_b32_e32 v10, v2
	v_mov_b32_e32 v9, v1
	v_mov_b32_e32 v8, v0
.LBB20_63:
	v_mov_b32_e32 v0, v8
	v_mov_b32_e32 v1, v9
	v_mov_b32_e32 v2, v10
	v_mov_b32_e32 v3, v11
	v_mov_b32_e32 v4, v12
	v_mov_b32_e32 v5, v13
	v_mov_b32_e32 v6, v14
	v_mov_b32_e32 v7, v15
.LBB20_64:
	s_or_b64 exec, exec, s[8:9]
	v_or_b32_e32 v27, 2, v16
	v_cmp_gt_i32_e32 vcc, s26, v27
	s_and_saveexec_b64 s[8:9], vcc
	s_cbranch_execz .LBB20_70
; %bb.65:
	s_andn2_b64 vcc, exec, s[2:3]
	s_cbranch_vccnz .LBB20_67
; %bb.66:
	global_load_dwordx2 v[28:29], v[20:21], off offset:16
	v_mov_b32_e32 v15, v7
	v_mov_b32_e32 v10, v2
	v_mov_b32_e32 v11, v3
	v_mov_b32_e32 v14, v6
	v_mov_b32_e32 v13, v5
	v_mov_b32_e32 v12, v4
	v_mov_b32_e32 v9, v1
	v_mov_b32_e32 v8, v0
	s_waitcnt vmcnt(0)
	v_cmp_neq_f32_e32 vcc, 0, v28
	v_cmp_neq_f32_e64 s[0:1], 0, v29
	s_or_b64 s[0:1], vcc, s[0:1]
	v_cndmask_b32_e64 v10, 0, 1, s[0:1]
	v_add_co_u32_e32 v10, vcc, v2, v10
	v_addc_co_u32_e32 v11, vcc, 0, v3, vcc
	s_cbranch_execz .LBB20_68
	s_branch .LBB20_69
.LBB20_67:
                                        ; implicit-def: $vgpr8_vgpr9_vgpr10_vgpr11_vgpr12_vgpr13_vgpr14_vgpr15
.LBB20_68:
	v_mad_u64_u32 v[8:9], s[0:1], s30, v27, 0
	v_mad_u64_u32 v[9:10], s[0:1], s31, v27, v[9:10]
	v_lshlrev_b64 v[8:9], 3, v[8:9]
	v_add_co_u32_e32 v8, vcc, v24, v8
	v_addc_co_u32_e32 v9, vcc, v26, v9, vcc
	global_load_dwordx2 v[8:9], v[8:9], off offset:512
	s_waitcnt vmcnt(0)
	v_cmp_neq_f32_e32 vcc, 0, v8
	v_cmp_neq_f32_e64 s[0:1], 0, v9
	s_or_b64 s[0:1], vcc, s[0:1]
	v_cndmask_b32_e64 v8, 0, 1, s[0:1]
	v_add_co_u32_e32 v2, vcc, v2, v8
	v_addc_co_u32_e32 v3, vcc, 0, v3, vcc
	v_mov_b32_e32 v15, v7
	v_mov_b32_e32 v14, v6
	v_mov_b32_e32 v13, v5
	v_mov_b32_e32 v12, v4
	v_mov_b32_e32 v11, v3
	v_mov_b32_e32 v10, v2
	v_mov_b32_e32 v9, v1
	v_mov_b32_e32 v8, v0
.LBB20_69:
	v_mov_b32_e32 v0, v8
	v_mov_b32_e32 v1, v9
	v_mov_b32_e32 v2, v10
	v_mov_b32_e32 v3, v11
	v_mov_b32_e32 v4, v12
	v_mov_b32_e32 v5, v13
	v_mov_b32_e32 v6, v14
	v_mov_b32_e32 v7, v15
.LBB20_70:
	;; [unrolled: 61-line block ×3, first 2 shown]
	s_or_b64 exec, exec, s[8:9]
.LBB20_77:
	s_or_b64 exec, exec, s[6:7]
	v_or_b32_e32 v8, 0x80, v18
	v_cmp_gt_i32_e32 vcc, s25, v8
	s_and_saveexec_b64 s[6:7], vcc
	s_cbranch_execz .LBB20_101
; %bb.78:
	v_ashrrev_i32_e32 v10, 31, v8
	v_mul_lo_u32 v11, s31, v8
	v_mad_u64_u32 v[8:9], s[0:1], s30, v8, 0
	v_mul_lo_u32 v10, s30, v10
	v_add3_u32 v9, v9, v10, v11
	v_lshlrev_b64 v[8:9], 3, v[8:9]
	v_mov_b32_e32 v10, s29
	v_add_co_u32_e32 v20, vcc, v17, v8
	v_addc_co_u32_e32 v21, vcc, v25, v9, vcc
	v_lshlrev_b64 v[8:9], 3, v[18:19]
	v_add_co_u32_e32 v24, vcc, s28, v8
	v_addc_co_u32_e32 v26, vcc, v10, v9, vcc
	v_cmp_gt_i32_e32 vcc, s26, v16
	s_and_saveexec_b64 s[8:9], vcc
	s_cbranch_execz .LBB20_82
; %bb.79:
	v_mov_b32_e32 v8, v20
	s_andn2_b64 vcc, exec, s[4:5]
	v_mov_b32_e32 v9, v21
	s_cbranch_vccnz .LBB20_81
; %bb.80:
	v_mad_u64_u32 v[8:9], s[0:1], s30, v16, 0
	v_mad_u64_u32 v[9:10], s[0:1], s31, v16, v[9:10]
	v_lshlrev_b64 v[8:9], 3, v[8:9]
	v_add_co_u32_e32 v8, vcc, v24, v8
	v_addc_co_u32_e32 v9, vcc, v26, v9, vcc
	v_add_co_u32_e32 v8, vcc, 0x400, v8
	v_addc_co_u32_e32 v9, vcc, 0, v9, vcc
.LBB20_81:
	global_load_dwordx2 v[8:9], v[8:9], off
	s_waitcnt vmcnt(0)
	v_cmp_neq_f32_e32 vcc, 0, v8
	v_cmp_neq_f32_e64 s[0:1], 0, v9
	s_or_b64 s[0:1], vcc, s[0:1]
	v_cndmask_b32_e64 v8, 0, 1, s[0:1]
	v_add_co_u32_e32 v4, vcc, v4, v8
	v_addc_co_u32_e32 v5, vcc, 0, v5, vcc
.LBB20_82:
	s_or_b64 exec, exec, s[8:9]
	v_or_b32_e32 v27, 1, v16
	v_cmp_gt_i32_e32 vcc, s26, v27
	s_and_saveexec_b64 s[8:9], vcc
	s_cbranch_execz .LBB20_88
; %bb.83:
	s_andn2_b64 vcc, exec, s[2:3]
	s_cbranch_vccnz .LBB20_85
; %bb.84:
	global_load_dwordx2 v[28:29], v[20:21], off offset:8
	v_mov_b32_e32 v15, v7
	v_mov_b32_e32 v12, v4
	v_mov_b32_e32 v13, v5
	v_mov_b32_e32 v14, v6
	v_mov_b32_e32 v11, v3
	v_mov_b32_e32 v10, v2
	v_mov_b32_e32 v9, v1
	v_mov_b32_e32 v8, v0
	s_waitcnt vmcnt(0)
	v_cmp_neq_f32_e32 vcc, 0, v28
	v_cmp_neq_f32_e64 s[0:1], 0, v29
	s_or_b64 s[0:1], vcc, s[0:1]
	v_cndmask_b32_e64 v12, 0, 1, s[0:1]
	v_add_co_u32_e32 v12, vcc, v4, v12
	v_addc_co_u32_e32 v13, vcc, 0, v5, vcc
	s_cbranch_execz .LBB20_86
	s_branch .LBB20_87
.LBB20_85:
                                        ; implicit-def: $vgpr8_vgpr9_vgpr10_vgpr11_vgpr12_vgpr13_vgpr14_vgpr15
.LBB20_86:
	v_mad_u64_u32 v[8:9], s[0:1], s30, v27, 0
	v_mad_u64_u32 v[9:10], s[0:1], s31, v27, v[9:10]
	v_lshlrev_b64 v[8:9], 3, v[8:9]
	v_add_co_u32_e32 v8, vcc, v24, v8
	v_addc_co_u32_e32 v9, vcc, v26, v9, vcc
	global_load_dwordx2 v[8:9], v[8:9], off offset:1024
	s_waitcnt vmcnt(0)
	v_cmp_neq_f32_e32 vcc, 0, v8
	v_cmp_neq_f32_e64 s[0:1], 0, v9
	s_or_b64 s[0:1], vcc, s[0:1]
	v_cndmask_b32_e64 v8, 0, 1, s[0:1]
	v_add_co_u32_e32 v4, vcc, v4, v8
	v_addc_co_u32_e32 v5, vcc, 0, v5, vcc
	v_mov_b32_e32 v15, v7
	v_mov_b32_e32 v14, v6
	v_mov_b32_e32 v13, v5
	v_mov_b32_e32 v12, v4
	v_mov_b32_e32 v11, v3
	v_mov_b32_e32 v10, v2
	v_mov_b32_e32 v9, v1
	v_mov_b32_e32 v8, v0
.LBB20_87:
	v_mov_b32_e32 v0, v8
	v_mov_b32_e32 v1, v9
	v_mov_b32_e32 v2, v10
	v_mov_b32_e32 v3, v11
	v_mov_b32_e32 v4, v12
	v_mov_b32_e32 v5, v13
	v_mov_b32_e32 v6, v14
	v_mov_b32_e32 v7, v15
.LBB20_88:
	s_or_b64 exec, exec, s[8:9]
	v_or_b32_e32 v27, 2, v16
	v_cmp_gt_i32_e32 vcc, s26, v27
	s_and_saveexec_b64 s[8:9], vcc
	s_cbranch_execz .LBB20_94
; %bb.89:
	s_andn2_b64 vcc, exec, s[2:3]
	s_cbranch_vccnz .LBB20_91
; %bb.90:
	global_load_dwordx2 v[28:29], v[20:21], off offset:16
	v_mov_b32_e32 v15, v7
	v_mov_b32_e32 v12, v4
	v_mov_b32_e32 v13, v5
	v_mov_b32_e32 v14, v6
	v_mov_b32_e32 v11, v3
	v_mov_b32_e32 v10, v2
	v_mov_b32_e32 v9, v1
	v_mov_b32_e32 v8, v0
	s_waitcnt vmcnt(0)
	v_cmp_neq_f32_e32 vcc, 0, v28
	v_cmp_neq_f32_e64 s[0:1], 0, v29
	s_or_b64 s[0:1], vcc, s[0:1]
	v_cndmask_b32_e64 v12, 0, 1, s[0:1]
	v_add_co_u32_e32 v12, vcc, v4, v12
	v_addc_co_u32_e32 v13, vcc, 0, v5, vcc
	s_cbranch_execz .LBB20_92
	s_branch .LBB20_93
.LBB20_91:
                                        ; implicit-def: $vgpr8_vgpr9_vgpr10_vgpr11_vgpr12_vgpr13_vgpr14_vgpr15
.LBB20_92:
	v_mad_u64_u32 v[8:9], s[0:1], s30, v27, 0
	v_mad_u64_u32 v[9:10], s[0:1], s31, v27, v[9:10]
	v_lshlrev_b64 v[8:9], 3, v[8:9]
	v_add_co_u32_e32 v8, vcc, v24, v8
	v_addc_co_u32_e32 v9, vcc, v26, v9, vcc
	global_load_dwordx2 v[8:9], v[8:9], off offset:1024
	s_waitcnt vmcnt(0)
	v_cmp_neq_f32_e32 vcc, 0, v8
	v_cmp_neq_f32_e64 s[0:1], 0, v9
	s_or_b64 s[0:1], vcc, s[0:1]
	v_cndmask_b32_e64 v8, 0, 1, s[0:1]
	v_add_co_u32_e32 v4, vcc, v4, v8
	v_addc_co_u32_e32 v5, vcc, 0, v5, vcc
	v_mov_b32_e32 v15, v7
	v_mov_b32_e32 v14, v6
	v_mov_b32_e32 v13, v5
	v_mov_b32_e32 v12, v4
	v_mov_b32_e32 v11, v3
	v_mov_b32_e32 v10, v2
	v_mov_b32_e32 v9, v1
	v_mov_b32_e32 v8, v0
.LBB20_93:
	v_mov_b32_e32 v0, v8
	v_mov_b32_e32 v1, v9
	v_mov_b32_e32 v2, v10
	v_mov_b32_e32 v3, v11
	v_mov_b32_e32 v4, v12
	v_mov_b32_e32 v5, v13
	v_mov_b32_e32 v6, v14
	v_mov_b32_e32 v7, v15
.LBB20_94:
	s_or_b64 exec, exec, s[8:9]
	v_or_b32_e32 v27, 3, v16
	v_cmp_gt_i32_e32 vcc, s26, v27
	s_and_saveexec_b64 s[8:9], vcc
	s_cbranch_execz .LBB20_100
; %bb.95:
	s_andn2_b64 vcc, exec, s[2:3]
	s_cbranch_vccnz .LBB20_97
; %bb.96:
	global_load_dwordx2 v[20:21], v[20:21], off offset:24
	v_mov_b32_e32 v15, v7
	v_mov_b32_e32 v12, v4
	v_mov_b32_e32 v13, v5
	v_mov_b32_e32 v14, v6
	v_mov_b32_e32 v11, v3
	v_mov_b32_e32 v10, v2
	v_mov_b32_e32 v9, v1
	v_mov_b32_e32 v8, v0
	s_waitcnt vmcnt(0)
	v_cmp_neq_f32_e32 vcc, 0, v20
	v_cmp_neq_f32_e64 s[0:1], 0, v21
	s_or_b64 s[0:1], vcc, s[0:1]
	v_cndmask_b32_e64 v12, 0, 1, s[0:1]
	v_add_co_u32_e32 v12, vcc, v4, v12
	v_addc_co_u32_e32 v13, vcc, 0, v5, vcc
	s_cbranch_execz .LBB20_98
	s_branch .LBB20_99
.LBB20_97:
                                        ; implicit-def: $vgpr8_vgpr9_vgpr10_vgpr11_vgpr12_vgpr13_vgpr14_vgpr15
.LBB20_98:
	v_mad_u64_u32 v[8:9], s[0:1], s30, v27, 0
	v_mad_u64_u32 v[9:10], s[0:1], s31, v27, v[9:10]
	v_lshlrev_b64 v[8:9], 3, v[8:9]
	v_add_co_u32_e32 v8, vcc, v24, v8
	v_addc_co_u32_e32 v9, vcc, v26, v9, vcc
	global_load_dwordx2 v[8:9], v[8:9], off offset:1024
	s_waitcnt vmcnt(0)
	v_cmp_neq_f32_e32 vcc, 0, v8
	v_cmp_neq_f32_e64 s[0:1], 0, v9
	s_or_b64 s[0:1], vcc, s[0:1]
	v_cndmask_b32_e64 v8, 0, 1, s[0:1]
	v_add_co_u32_e32 v4, vcc, v4, v8
	v_addc_co_u32_e32 v5, vcc, 0, v5, vcc
	v_mov_b32_e32 v15, v7
	v_mov_b32_e32 v14, v6
	v_mov_b32_e32 v13, v5
	v_mov_b32_e32 v12, v4
	v_mov_b32_e32 v11, v3
	v_mov_b32_e32 v10, v2
	v_mov_b32_e32 v9, v1
	v_mov_b32_e32 v8, v0
.LBB20_99:
	v_mov_b32_e32 v0, v8
	v_mov_b32_e32 v1, v9
	v_mov_b32_e32 v2, v10
	v_mov_b32_e32 v3, v11
	v_mov_b32_e32 v4, v12
	v_mov_b32_e32 v5, v13
	v_mov_b32_e32 v6, v14
	v_mov_b32_e32 v7, v15
.LBB20_100:
	s_or_b64 exec, exec, s[8:9]
.LBB20_101:
	s_or_b64 exec, exec, s[6:7]
	v_or_b32_e32 v8, 0xc0, v18
	v_cmp_gt_i32_e32 vcc, s25, v8
	s_and_saveexec_b64 s[6:7], vcc
	s_cbranch_execz .LBB20_125
; %bb.102:
	v_ashrrev_i32_e32 v10, 31, v8
	v_mul_lo_u32 v11, s31, v8
	v_mad_u64_u32 v[8:9], s[0:1], s30, v8, 0
	v_mul_lo_u32 v10, s30, v10
	v_add3_u32 v9, v9, v10, v11
	v_lshlrev_b64 v[8:9], 3, v[8:9]
	v_mov_b32_e32 v10, s29
	v_add_co_u32_e32 v20, vcc, v17, v8
	v_addc_co_u32_e32 v21, vcc, v25, v9, vcc
	v_lshlrev_b64 v[8:9], 3, v[18:19]
	v_add_co_u32_e32 v17, vcc, s28, v8
	v_addc_co_u32_e32 v18, vcc, v10, v9, vcc
	v_cmp_gt_i32_e32 vcc, s26, v16
	s_and_saveexec_b64 s[8:9], vcc
	s_cbranch_execz .LBB20_106
; %bb.103:
	v_mov_b32_e32 v8, v20
	s_andn2_b64 vcc, exec, s[4:5]
	v_mov_b32_e32 v9, v21
	s_cbranch_vccnz .LBB20_105
; %bb.104:
	v_mad_u64_u32 v[8:9], s[0:1], s30, v16, 0
	v_mad_u64_u32 v[9:10], s[0:1], s31, v16, v[9:10]
	v_lshlrev_b64 v[8:9], 3, v[8:9]
	v_add_co_u32_e32 v8, vcc, v17, v8
	v_addc_co_u32_e32 v9, vcc, v18, v9, vcc
	v_add_co_u32_e32 v8, vcc, 0x600, v8
	v_addc_co_u32_e32 v9, vcc, 0, v9, vcc
.LBB20_105:
	global_load_dwordx2 v[8:9], v[8:9], off
	s_waitcnt vmcnt(0)
	v_cmp_neq_f32_e32 vcc, 0, v8
	v_cmp_neq_f32_e64 s[0:1], 0, v9
	s_or_b64 s[0:1], vcc, s[0:1]
	v_cndmask_b32_e64 v8, 0, 1, s[0:1]
	v_add_co_u32_e32 v6, vcc, v6, v8
	v_addc_co_u32_e32 v7, vcc, 0, v7, vcc
.LBB20_106:
	s_or_b64 exec, exec, s[8:9]
	v_or_b32_e32 v19, 1, v16
	v_cndmask_b32_e64 v8, 0, 1, s[2:3]
	v_cmp_gt_i32_e32 vcc, s26, v19
	v_cmp_ne_u32_e64 s[0:1], 1, v8
	s_and_saveexec_b64 s[4:5], vcc
	s_cbranch_execz .LBB20_112
; %bb.107:
	s_and_b64 vcc, exec, s[0:1]
	s_cbranch_vccnz .LBB20_109
; %bb.108:
	global_load_dwordx2 v[24:25], v[20:21], off offset:8
	v_mov_b32_e32 v15, v7
	v_mov_b32_e32 v14, v6
	;; [unrolled: 1-line block ×8, first 2 shown]
	s_waitcnt vmcnt(0)
	v_cmp_neq_f32_e32 vcc, 0, v24
	v_cmp_neq_f32_e64 s[2:3], 0, v25
	s_or_b64 s[2:3], vcc, s[2:3]
	v_cndmask_b32_e64 v14, 0, 1, s[2:3]
	v_add_co_u32_e32 v14, vcc, v6, v14
	v_addc_co_u32_e32 v15, vcc, 0, v7, vcc
	s_cbranch_execz .LBB20_110
	s_branch .LBB20_111
.LBB20_109:
                                        ; implicit-def: $vgpr8_vgpr9_vgpr10_vgpr11_vgpr12_vgpr13_vgpr14_vgpr15
.LBB20_110:
	v_mad_u64_u32 v[8:9], s[2:3], s30, v19, 0
	v_mad_u64_u32 v[9:10], s[2:3], s31, v19, v[9:10]
	v_lshlrev_b64 v[8:9], 3, v[8:9]
	v_add_co_u32_e32 v8, vcc, v17, v8
	v_addc_co_u32_e32 v9, vcc, v18, v9, vcc
	global_load_dwordx2 v[8:9], v[8:9], off offset:1536
	s_waitcnt vmcnt(0)
	v_cmp_neq_f32_e32 vcc, 0, v8
	v_cmp_neq_f32_e64 s[2:3], 0, v9
	s_or_b64 s[2:3], vcc, s[2:3]
	v_cndmask_b32_e64 v8, 0, 1, s[2:3]
	v_add_co_u32_e32 v6, vcc, v6, v8
	v_addc_co_u32_e32 v7, vcc, 0, v7, vcc
	v_mov_b32_e32 v15, v7
	v_mov_b32_e32 v14, v6
	v_mov_b32_e32 v13, v5
	v_mov_b32_e32 v12, v4
	v_mov_b32_e32 v11, v3
	v_mov_b32_e32 v10, v2
	v_mov_b32_e32 v9, v1
	v_mov_b32_e32 v8, v0
.LBB20_111:
	v_mov_b32_e32 v0, v8
	v_mov_b32_e32 v1, v9
	;; [unrolled: 1-line block ×8, first 2 shown]
.LBB20_112:
	s_or_b64 exec, exec, s[4:5]
	v_or_b32_e32 v19, 2, v16
	v_cmp_gt_i32_e32 vcc, s26, v19
	s_and_saveexec_b64 s[4:5], vcc
	s_cbranch_execz .LBB20_118
; %bb.113:
	s_and_b64 vcc, exec, s[0:1]
	s_cbranch_vccnz .LBB20_115
; %bb.114:
	global_load_dwordx2 v[24:25], v[20:21], off offset:16
	v_mov_b32_e32 v15, v7
	v_mov_b32_e32 v14, v6
	;; [unrolled: 1-line block ×8, first 2 shown]
	s_waitcnt vmcnt(0)
	v_cmp_neq_f32_e32 vcc, 0, v24
	v_cmp_neq_f32_e64 s[2:3], 0, v25
	s_or_b64 s[2:3], vcc, s[2:3]
	v_cndmask_b32_e64 v14, 0, 1, s[2:3]
	v_add_co_u32_e32 v14, vcc, v6, v14
	v_addc_co_u32_e32 v15, vcc, 0, v7, vcc
	s_cbranch_execz .LBB20_116
	s_branch .LBB20_117
.LBB20_115:
                                        ; implicit-def: $vgpr8_vgpr9_vgpr10_vgpr11_vgpr12_vgpr13_vgpr14_vgpr15
.LBB20_116:
	v_mad_u64_u32 v[8:9], s[2:3], s30, v19, 0
	v_mad_u64_u32 v[9:10], s[2:3], s31, v19, v[9:10]
	v_lshlrev_b64 v[8:9], 3, v[8:9]
	v_add_co_u32_e32 v8, vcc, v17, v8
	v_addc_co_u32_e32 v9, vcc, v18, v9, vcc
	global_load_dwordx2 v[8:9], v[8:9], off offset:1536
	s_waitcnt vmcnt(0)
	v_cmp_neq_f32_e32 vcc, 0, v8
	v_cmp_neq_f32_e64 s[2:3], 0, v9
	s_or_b64 s[2:3], vcc, s[2:3]
	v_cndmask_b32_e64 v8, 0, 1, s[2:3]
	v_add_co_u32_e32 v6, vcc, v6, v8
	v_addc_co_u32_e32 v7, vcc, 0, v7, vcc
	v_mov_b32_e32 v15, v7
	v_mov_b32_e32 v14, v6
	;; [unrolled: 1-line block ×8, first 2 shown]
.LBB20_117:
	v_mov_b32_e32 v0, v8
	v_mov_b32_e32 v1, v9
	;; [unrolled: 1-line block ×8, first 2 shown]
.LBB20_118:
	s_or_b64 exec, exec, s[4:5]
	v_or_b32_e32 v16, 3, v16
	v_cmp_gt_i32_e32 vcc, s26, v16
	s_and_saveexec_b64 s[2:3], vcc
	s_cbranch_execz .LBB20_124
; %bb.119:
	s_and_b64 vcc, exec, s[0:1]
	s_cbranch_vccnz .LBB20_121
; %bb.120:
	global_load_dwordx2 v[19:20], v[20:21], off offset:24
	v_mov_b32_e32 v15, v7
	v_mov_b32_e32 v14, v6
	;; [unrolled: 1-line block ×8, first 2 shown]
	s_waitcnt vmcnt(0)
	v_cmp_neq_f32_e32 vcc, 0, v19
	v_cmp_neq_f32_e64 s[0:1], 0, v20
	s_or_b64 s[0:1], vcc, s[0:1]
	v_cndmask_b32_e64 v14, 0, 1, s[0:1]
	v_add_co_u32_e32 v14, vcc, v6, v14
	v_addc_co_u32_e32 v15, vcc, 0, v7, vcc
	s_cbranch_execz .LBB20_122
	s_branch .LBB20_123
.LBB20_121:
                                        ; implicit-def: $vgpr8_vgpr9_vgpr10_vgpr11_vgpr12_vgpr13_vgpr14_vgpr15
.LBB20_122:
	v_mad_u64_u32 v[8:9], s[0:1], s30, v16, 0
	v_mad_u64_u32 v[9:10], s[0:1], s31, v16, v[9:10]
	v_lshlrev_b64 v[8:9], 3, v[8:9]
	v_add_co_u32_e32 v8, vcc, v17, v8
	v_addc_co_u32_e32 v9, vcc, v18, v9, vcc
	global_load_dwordx2 v[8:9], v[8:9], off offset:1536
	s_waitcnt vmcnt(0)
	v_cmp_neq_f32_e32 vcc, 0, v8
	v_cmp_neq_f32_e64 s[0:1], 0, v9
	s_or_b64 s[0:1], vcc, s[0:1]
	v_cndmask_b32_e64 v8, 0, 1, s[0:1]
	v_add_co_u32_e32 v6, vcc, v6, v8
	v_addc_co_u32_e32 v7, vcc, 0, v7, vcc
	v_mov_b32_e32 v15, v7
	v_mov_b32_e32 v14, v6
	;; [unrolled: 1-line block ×8, first 2 shown]
.LBB20_123:
	v_mov_b32_e32 v0, v8
	v_mov_b32_e32 v1, v9
	v_mov_b32_e32 v2, v10
	v_mov_b32_e32 v3, v11
	v_mov_b32_e32 v4, v12
	v_mov_b32_e32 v5, v13
	v_mov_b32_e32 v6, v14
	v_mov_b32_e32 v7, v15
.LBB20_124:
	s_or_b64 exec, exec, s[2:3]
.LBB20_125:
	s_or_b64 exec, exec, s[6:7]
.LBB20_126:
	v_lshlrev_b32_e32 v8, 5, v22
	v_lshlrev_b32_e32 v9, 3, v23
	s_movk_i32 s0, 0xf800
	v_and_or_b32 v8, v8, s0, v9
	s_movk_i32 s0, 0x100
	v_cmp_gt_u32_e32 vcc, s0, v22
	ds_write2st64_b64 v8, v[0:1], v[2:3] offset1:1
	ds_write2st64_b64 v8, v[4:5], v[6:7] offset0:2 offset1:3
	s_waitcnt lgkmcnt(0)
	s_barrier
	s_and_saveexec_b64 s[0:1], vcc
	s_cbranch_execz .LBB20_129
; %bb.127:
	v_lshlrev_b32_e32 v9, 3, v22
	ds_read2st64_b64 v[1:4], v9 offset1:4
	ds_read2st64_b64 v[5:8], v9 offset0:8 offset1:12
	v_add_u32_e32 v0, s27, v22
	s_waitcnt lgkmcnt(1)
	v_add_co_u32_e32 v1, vcc, v1, v3
	v_addc_co_u32_e32 v2, vcc, v2, v4, vcc
	s_waitcnt lgkmcnt(0)
	v_add_co_u32_e32 v5, vcc, v1, v5
	v_addc_co_u32_e32 v6, vcc, v2, v6, vcc
	ds_read2st64_b64 v[1:4], v9 offset0:16 offset1:20
	v_add_co_u32_e32 v5, vcc, v5, v7
	v_addc_co_u32_e32 v6, vcc, v6, v8, vcc
	s_waitcnt lgkmcnt(0)
	v_add_co_u32_e32 v1, vcc, v5, v1
	v_addc_co_u32_e32 v2, vcc, v6, v2, vcc
	ds_read2st64_b64 v[5:8], v9 offset0:24 offset1:28
	;; [unrolled: 6-line block ×6, first 2 shown]
	v_add_co_u32_e32 v1, vcc, v1, v3
	v_addc_co_u32_e32 v2, vcc, v2, v4, vcc
	s_waitcnt lgkmcnt(0)
	v_add_co_u32_e32 v1, vcc, v1, v5
	v_addc_co_u32_e32 v3, vcc, v2, v6, vcc
	v_add_co_u32_e32 v2, vcc, v1, v7
	v_addc_co_u32_e32 v3, vcc, v3, v8, vcc
	v_cmp_gt_i32_e32 vcc, s25, v0
	ds_write_b64 v9, v[2:3]
	s_and_b64 exec, exec, vcc
	s_cbranch_execz .LBB20_129
; %bb.128:
	v_ashrrev_i32_e32 v1, 31, v0
	v_lshlrev_b64 v[0:1], 3, v[0:1]
	v_mov_b32_e32 v4, s35
	v_add_co_u32_e32 v0, vcc, s34, v0
	v_addc_co_u32_e32 v1, vcc, v4, v1, vcc
	global_store_dwordx2 v[0:1], v[2:3], off
.LBB20_129:
	s_endpgm
	.section	.rodata,"a",@progbits
	.p2align	6, 0x0
	.amdhsa_kernel _ZN9rocsparseL14nnz_kernel_rowILi64ELi16Eli21rocsparse_complex_numIfEEEv16rocsparse_order_T2_S4_PKT3_lPT1_
		.amdhsa_group_segment_fixed_size 32768
		.amdhsa_private_segment_fixed_size 0
		.amdhsa_kernarg_size 296
		.amdhsa_user_sgpr_count 6
		.amdhsa_user_sgpr_private_segment_buffer 1
		.amdhsa_user_sgpr_dispatch_ptr 0
		.amdhsa_user_sgpr_queue_ptr 0
		.amdhsa_user_sgpr_kernarg_segment_ptr 1
		.amdhsa_user_sgpr_dispatch_id 0
		.amdhsa_user_sgpr_flat_scratch_init 0
		.amdhsa_user_sgpr_private_segment_size 0
		.amdhsa_uses_dynamic_stack 0
		.amdhsa_system_sgpr_private_segment_wavefront_offset 0
		.amdhsa_system_sgpr_workgroup_id_x 1
		.amdhsa_system_sgpr_workgroup_id_y 0
		.amdhsa_system_sgpr_workgroup_id_z 0
		.amdhsa_system_sgpr_workgroup_info 0
		.amdhsa_system_vgpr_workitem_id 1
		.amdhsa_next_free_vgpr 39
		.amdhsa_next_free_sgpr 61
		.amdhsa_reserve_vcc 1
		.amdhsa_reserve_flat_scratch 0
		.amdhsa_float_round_mode_32 0
		.amdhsa_float_round_mode_16_64 0
		.amdhsa_float_denorm_mode_32 3
		.amdhsa_float_denorm_mode_16_64 3
		.amdhsa_dx10_clamp 1
		.amdhsa_ieee_mode 1
		.amdhsa_fp16_overflow 0
		.amdhsa_exception_fp_ieee_invalid_op 0
		.amdhsa_exception_fp_denorm_src 0
		.amdhsa_exception_fp_ieee_div_zero 0
		.amdhsa_exception_fp_ieee_overflow 0
		.amdhsa_exception_fp_ieee_underflow 0
		.amdhsa_exception_fp_ieee_inexact 0
		.amdhsa_exception_int_div_zero 0
	.end_amdhsa_kernel
	.section	.text._ZN9rocsparseL14nnz_kernel_rowILi64ELi16Eli21rocsparse_complex_numIfEEEv16rocsparse_order_T2_S4_PKT3_lPT1_,"axG",@progbits,_ZN9rocsparseL14nnz_kernel_rowILi64ELi16Eli21rocsparse_complex_numIfEEEv16rocsparse_order_T2_S4_PKT3_lPT1_,comdat
.Lfunc_end20:
	.size	_ZN9rocsparseL14nnz_kernel_rowILi64ELi16Eli21rocsparse_complex_numIfEEEv16rocsparse_order_T2_S4_PKT3_lPT1_, .Lfunc_end20-_ZN9rocsparseL14nnz_kernel_rowILi64ELi16Eli21rocsparse_complex_numIfEEEv16rocsparse_order_T2_S4_PKT3_lPT1_
                                        ; -- End function
	.set _ZN9rocsparseL14nnz_kernel_rowILi64ELi16Eli21rocsparse_complex_numIfEEEv16rocsparse_order_T2_S4_PKT3_lPT1_.num_vgpr, 39
	.set _ZN9rocsparseL14nnz_kernel_rowILi64ELi16Eli21rocsparse_complex_numIfEEEv16rocsparse_order_T2_S4_PKT3_lPT1_.num_agpr, 0
	.set _ZN9rocsparseL14nnz_kernel_rowILi64ELi16Eli21rocsparse_complex_numIfEEEv16rocsparse_order_T2_S4_PKT3_lPT1_.numbered_sgpr, 46
	.set _ZN9rocsparseL14nnz_kernel_rowILi64ELi16Eli21rocsparse_complex_numIfEEEv16rocsparse_order_T2_S4_PKT3_lPT1_.num_named_barrier, 0
	.set _ZN9rocsparseL14nnz_kernel_rowILi64ELi16Eli21rocsparse_complex_numIfEEEv16rocsparse_order_T2_S4_PKT3_lPT1_.private_seg_size, 0
	.set _ZN9rocsparseL14nnz_kernel_rowILi64ELi16Eli21rocsparse_complex_numIfEEEv16rocsparse_order_T2_S4_PKT3_lPT1_.uses_vcc, 1
	.set _ZN9rocsparseL14nnz_kernel_rowILi64ELi16Eli21rocsparse_complex_numIfEEEv16rocsparse_order_T2_S4_PKT3_lPT1_.uses_flat_scratch, 0
	.set _ZN9rocsparseL14nnz_kernel_rowILi64ELi16Eli21rocsparse_complex_numIfEEEv16rocsparse_order_T2_S4_PKT3_lPT1_.has_dyn_sized_stack, 0
	.set _ZN9rocsparseL14nnz_kernel_rowILi64ELi16Eli21rocsparse_complex_numIfEEEv16rocsparse_order_T2_S4_PKT3_lPT1_.has_recursion, 0
	.set _ZN9rocsparseL14nnz_kernel_rowILi64ELi16Eli21rocsparse_complex_numIfEEEv16rocsparse_order_T2_S4_PKT3_lPT1_.has_indirect_call, 0
	.section	.AMDGPU.csdata,"",@progbits
; Kernel info:
; codeLenInByte = 7340
; TotalNumSgprs: 50
; NumVgprs: 39
; ScratchSize: 0
; MemoryBound: 0
; FloatMode: 240
; IeeeMode: 1
; LDSByteSize: 32768 bytes/workgroup (compile time only)
; SGPRBlocks: 8
; VGPRBlocks: 9
; NumSGPRsForWavesPerEU: 65
; NumVGPRsForWavesPerEU: 39
; Occupancy: 6
; WaveLimiterHint : 0
; COMPUTE_PGM_RSRC2:SCRATCH_EN: 0
; COMPUTE_PGM_RSRC2:USER_SGPR: 6
; COMPUTE_PGM_RSRC2:TRAP_HANDLER: 0
; COMPUTE_PGM_RSRC2:TGID_X_EN: 1
; COMPUTE_PGM_RSRC2:TGID_Y_EN: 0
; COMPUTE_PGM_RSRC2:TGID_Z_EN: 0
; COMPUTE_PGM_RSRC2:TIDIG_COMP_CNT: 1
	.section	.text._ZN9rocsparseL14nnz_kernel_colILi256Eli21rocsparse_complex_numIfEEEv16rocsparse_order_T1_S4_PKT2_lPT0_,"axG",@progbits,_ZN9rocsparseL14nnz_kernel_colILi256Eli21rocsparse_complex_numIfEEEv16rocsparse_order_T1_S4_PKT2_lPT0_,comdat
	.globl	_ZN9rocsparseL14nnz_kernel_colILi256Eli21rocsparse_complex_numIfEEEv16rocsparse_order_T1_S4_PKT2_lPT0_ ; -- Begin function _ZN9rocsparseL14nnz_kernel_colILi256Eli21rocsparse_complex_numIfEEEv16rocsparse_order_T1_S4_PKT2_lPT0_
	.p2align	8
	.type	_ZN9rocsparseL14nnz_kernel_colILi256Eli21rocsparse_complex_numIfEEEv16rocsparse_order_T1_S4_PKT2_lPT0_,@function
_ZN9rocsparseL14nnz_kernel_colILi256Eli21rocsparse_complex_numIfEEEv16rocsparse_order_T1_S4_PKT2_lPT0_: ; @_ZN9rocsparseL14nnz_kernel_colILi256Eli21rocsparse_complex_numIfEEEv16rocsparse_order_T1_S4_PKT2_lPT0_
; %bb.0:
	s_load_dwordx2 s[2:3], s[4:5], 0x0
	s_load_dwordx4 s[8:11], s[4:5], 0x10
	s_waitcnt lgkmcnt(0)
	s_ashr_i32 s0, s3, 31
	s_lshr_b32 s0, s0, 24
	s_add_i32 s0, s3, s0
	s_and_b32 s12, s0, 0xffffff00
	s_cmp_eq_u32 s2, 1
	s_cbranch_scc1 .LBB21_6
; %bb.1:
	v_mov_b32_e32 v1, 0
	v_mov_b32_e32 v2, 0
	s_cmpk_lt_i32 s3, 0x100
	s_cbranch_scc1 .LBB21_7
; %bb.2:
	v_mad_u64_u32 v[1:2], s[0:1], s10, v0, 0
	s_ashr_i32 s7, s6, 31
	s_mov_b32 s2, 0
	v_mad_u64_u32 v[2:3], s[0:1], s11, v0, v[2:3]
	s_lshl_b64 s[0:1], s[6:7], 3
	s_add_u32 s0, s8, s0
	v_lshlrev_b64 v[1:2], 3, v[1:2]
	s_addc_u32 s1, s9, s1
	v_mov_b32_e32 v3, s1
	v_add_co_u32_e32 v1, vcc, s0, v1
	v_addc_co_u32_e32 v2, vcc, v3, v2, vcc
	v_add_co_u32_e32 v3, vcc, 4, v1
	v_addc_co_u32_e32 v4, vcc, 0, v2, vcc
	s_lshl_b64 s[14:15], s[10:11], 11
	v_mov_b32_e32 v1, 0
	v_mov_b32_e32 v2, 0
	;; [unrolled: 1-line block ×3, first 2 shown]
	s_branch .LBB21_4
.LBB21_3:                               ;   in Loop: Header=BB21_4 Depth=1
	s_or_b64 exec, exec, s[16:17]
	s_addk_i32 s2, 0x100
	v_add_co_u32_e32 v3, vcc, s14, v3
	s_cmp_ge_i32 s2, s12
	v_addc_co_u32_e32 v4, vcc, v4, v5, vcc
	s_cbranch_scc1 .LBB21_7
.LBB21_4:                               ; =>This Inner Loop Header: Depth=1
	v_add_u32_e32 v6, s2, v0
	v_cmp_gt_i32_e32 vcc, s3, v6
	s_and_saveexec_b64 s[16:17], vcc
	s_cbranch_execz .LBB21_3
; %bb.5:                                ;   in Loop: Header=BB21_4 Depth=1
	global_load_dwordx2 v[6:7], v[3:4], off offset:-4
	s_waitcnt vmcnt(0)
	v_cmp_neq_f32_e32 vcc, 0, v6
	v_cmp_neq_f32_e64 s[0:1], 0, v7
	s_or_b64 s[0:1], vcc, s[0:1]
	v_cndmask_b32_e64 v6, 0, 1, s[0:1]
	v_add_co_u32_e32 v1, vcc, v1, v6
	v_addc_co_u32_e32 v2, vcc, 0, v2, vcc
	s_branch .LBB21_3
.LBB21_6:
	s_mov_b64 s[14:15], 0
                                        ; implicit-def: $vgpr1_vgpr2
                                        ; implicit-def: $vgpr3_vgpr4
	s_cbranch_execnz .LBB21_10
	s_branch .LBB21_16
.LBB21_7:
	v_add_u32_e32 v5, s12, v0
	v_cmp_gt_i32_e32 vcc, s3, v5
	s_mov_b64 s[0:1], 0
	s_mov_b64 s[14:15], 0
                                        ; implicit-def: $vgpr3_vgpr4
	s_and_saveexec_b64 s[16:17], vcc
	s_xor_b64 s[16:17], exec, s[16:17]
	s_cbranch_execz .LBB21_9
; %bb.8:
	v_ashrrev_i32_e32 v3, 31, v5
	v_mul_lo_u32 v6, s11, v5
	v_mul_lo_u32 v7, s10, v3
	v_mad_u64_u32 v[3:4], s[18:19], s10, v5, 0
	s_ashr_i32 s7, s6, 31
	v_mov_b32_e32 v5, s9
	v_add3_u32 v4, v4, v7, v6
	v_lshlrev_b64 v[3:4], 3, v[3:4]
	s_lshl_b64 s[18:19], s[6:7], 3
	v_add_co_u32_e32 v3, vcc, s8, v3
	v_addc_co_u32_e32 v4, vcc, v5, v4, vcc
	v_mov_b32_e32 v5, s19
	v_add_co_u32_e32 v3, vcc, s18, v3
	s_mov_b64 s[14:15], exec
	v_addc_co_u32_e32 v4, vcc, v4, v5, vcc
.LBB21_9:
	s_or_b64 exec, exec, s[16:17]
	s_and_b64 vcc, exec, s[0:1]
	s_cbranch_vccz .LBB21_16
.LBB21_10:
	s_ashr_i32 s0, s6, 31
	s_mul_hi_u32 s1, s10, s6
	s_mul_i32 s0, s10, s0
	s_add_i32 s0, s1, s0
	s_mul_i32 s1, s11, s6
	v_cmp_gt_i32_e32 vcc, s3, v0
	s_add_i32 s11, s0, s1
	v_cndmask_b32_e32 v3, 0, v0, vcc
	v_mov_b32_e32 v1, 0
	s_mul_i32 s10, s10, s6
	s_mov_b32 s2, 0
	v_mov_b32_e32 v2, 0
	s_cmpk_lt_i32 s3, 0x100
	v_lshlrev_b32_e32 v5, 3, v3
	s_cbranch_scc1 .LBB21_13
; %bb.11:
	s_lshl_b64 s[0:1], s[10:11], 3
	s_add_u32 s0, s8, s0
	s_addc_u32 s1, s9, s1
	v_mov_b32_e32 v1, s1
	v_add_co_u32_e32 v3, vcc, s0, v5
	v_addc_co_u32_e32 v4, vcc, 0, v1, vcc
	v_mov_b32_e32 v1, 0
	v_add_co_u32_e32 v3, vcc, 4, v3
	v_mov_b32_e32 v2, 0
	v_addc_co_u32_e32 v4, vcc, 0, v4, vcc
.LBB21_12:                              ; =>This Inner Loop Header: Depth=1
	global_load_dwordx2 v[6:7], v[3:4], off offset:-4
	v_add_co_u32_e32 v3, vcc, 0x800, v3
	v_addc_co_u32_e32 v4, vcc, 0, v4, vcc
	s_addk_i32 s2, 0x100
	s_waitcnt vmcnt(0)
	v_cmp_neq_f32_e32 vcc, 0, v6
	v_cmp_neq_f32_e64 s[0:1], 0, v7
	s_or_b64 s[0:1], vcc, s[0:1]
	v_cndmask_b32_e64 v6, 0, 1, s[0:1]
	v_add_co_u32_e32 v1, vcc, v1, v6
	s_cmp_ge_i32 s2, s12
	v_addc_co_u32_e32 v2, vcc, 0, v2, vcc
	s_cbranch_scc0 .LBB21_12
.LBB21_13:
	v_add_u32_e32 v3, s12, v0
	v_cmp_gt_i32_e32 vcc, s3, v3
                                        ; implicit-def: $vgpr3_vgpr4
	s_and_saveexec_b64 s[0:1], vcc
	s_cbranch_execz .LBB21_15
; %bb.14:
	s_lshl_b64 s[10:11], s[10:11], 3
	s_add_u32 s2, s8, s10
	s_addc_u32 s7, s9, s11
	v_mov_b32_e32 v3, s7
	v_add_co_u32_e32 v4, vcc, s2, v5
	s_ashr_i32 s13, s12, 31
	v_addc_co_u32_e32 v5, vcc, 0, v3, vcc
	s_lshl_b64 s[8:9], s[12:13], 3
	v_mov_b32_e32 v6, s9
	v_add_co_u32_e32 v3, vcc, s8, v4
	v_addc_co_u32_e32 v4, vcc, v5, v6, vcc
	s_or_b64 s[14:15], s[14:15], exec
.LBB21_15:
	s_or_b64 exec, exec, s[0:1]
.LBB21_16:
	s_and_saveexec_b64 s[8:9], s[14:15]
	s_cbranch_execz .LBB21_18
; %bb.17:
	global_load_dwordx2 v[3:4], v[3:4], off
	s_waitcnt vmcnt(0)
	v_cmp_neq_f32_e32 vcc, 0, v3
	v_cmp_neq_f32_e64 s[0:1], 0, v4
	s_or_b64 s[0:1], vcc, s[0:1]
	v_cndmask_b32_e64 v3, 0, 1, s[0:1]
	v_add_co_u32_e32 v1, vcc, v1, v3
	v_addc_co_u32_e32 v2, vcc, 0, v2, vcc
.LBB21_18:
	s_or_b64 exec, exec, s[8:9]
	v_lshlrev_b32_e32 v3, 3, v0
	s_cmpk_lt_i32 s3, 0x100
	s_mov_b64 s[0:1], -1
	v_cmp_eq_u32_e32 vcc, 0, v0
	ds_write_b64 v3, v[1:2]
	s_waitcnt lgkmcnt(0)
	s_cbranch_scc1 .LBB21_22
; %bb.19:
	s_and_b64 vcc, exec, s[0:1]
	s_cbranch_vccnz .LBB21_32
.LBB21_20:
	v_cmp_eq_u32_e32 vcc, 0, v0
	s_and_saveexec_b64 s[0:1], vcc
	s_cbranch_execnz .LBB21_49
.LBB21_21:
	s_endpgm
.LBB21_22:
	s_cmp_gt_i32 s3, 1
	s_cselect_b64 s[0:1], -1, 0
	s_mov_b32 s7, 1
	s_and_b64 s[8:9], vcc, s[0:1]
	s_barrier
	s_and_saveexec_b64 s[0:1], s[8:9]
	s_cbranch_execz .LBB21_31
; %bb.23:
	v_mov_b32_e32 v1, 0
	ds_read_b64 v[1:2], v1
	s_add_i32 s2, s3, -1
	s_add_i32 s3, s3, -2
	s_cmp_lt_u32 s3, 7
	s_cbranch_scc1 .LBB21_27
; %bb.24:
	s_and_b32 s3, s2, -8
	s_mov_b32 s8, 0
	s_mov_b32 s7, 8
.LBB21_25:                              ; =>This Inner Loop Header: Depth=1
	v_mov_b32_e32 v16, s7
	ds_read2_b64 v[4:7], v16 offset1:1
	ds_read2_b64 v[8:11], v16 offset0:2 offset1:3
	ds_read2_b64 v[12:15], v16 offset0:4 offset1:5
	;; [unrolled: 1-line block ×3, first 2 shown]
	s_mov_b32 s9, s8
	s_waitcnt lgkmcnt(3)
	v_add_co_u32_e32 v1, vcc, v1, v4
	v_addc_co_u32_e32 v2, vcc, v2, v5, vcc
	v_add_co_u32_e32 v1, vcc, v1, v6
	v_addc_co_u32_e32 v2, vcc, v2, v7, vcc
	s_waitcnt lgkmcnt(2)
	v_add_co_u32_e32 v1, vcc, v1, v8
	v_addc_co_u32_e32 v2, vcc, v2, v9, vcc
	v_add_co_u32_e32 v1, vcc, v1, v10
	v_addc_co_u32_e32 v2, vcc, v2, v11, vcc
	;; [unrolled: 5-line block ×3, first 2 shown]
	s_waitcnt lgkmcnt(0)
	v_add_co_u32_e32 v1, vcc, v1, v16
	v_addc_co_u32_e32 v2, vcc, v2, v17, vcc
	s_add_i32 s7, s7, 64
	s_add_i32 s8, s8, 8
	v_add_co_u32_e32 v1, vcc, v1, v18
	s_cmp_lg_u32 s3, s8
	v_addc_co_u32_e32 v2, vcc, v2, v19, vcc
	s_cbranch_scc1 .LBB21_25
; %bb.26:
	s_add_i32 s7, s9, 9
.LBB21_27:
	s_and_b32 s2, s2, 7
	s_cmp_eq_u32 s2, 0
	s_cbranch_scc1 .LBB21_30
; %bb.28:
	s_lshl_b32 s3, s7, 3
.LBB21_29:                              ; =>This Inner Loop Header: Depth=1
	v_mov_b32_e32 v4, s3
	ds_read_b64 v[4:5], v4
	s_add_i32 s3, s3, 8
	s_add_i32 s2, s2, -1
	s_cmp_lg_u32 s2, 0
	s_waitcnt lgkmcnt(0)
	v_add_co_u32_e32 v1, vcc, v1, v4
	v_addc_co_u32_e32 v2, vcc, v2, v5, vcc
	s_cbranch_scc1 .LBB21_29
.LBB21_30:
	v_mov_b32_e32 v4, 0
	s_waitcnt lgkmcnt(0)
	ds_write_b64 v4, v[1:2]
.LBB21_31:
	s_or_b64 exec, exec, s[0:1]
	s_waitcnt lgkmcnt(0)
	s_barrier
	s_branch .LBB21_20
.LBB21_32:
	s_movk_i32 s0, 0x80
	v_cmp_gt_u32_e32 vcc, s0, v0
	s_barrier
	s_and_saveexec_b64 s[0:1], vcc
	s_cbranch_execz .LBB21_34
; %bb.33:
	ds_read2st64_b64 v[4:7], v3 offset1:2
	s_waitcnt lgkmcnt(0)
	v_add_co_u32_e32 v1, vcc, v4, v6
	v_addc_co_u32_e32 v2, vcc, v5, v7, vcc
	ds_write_b64 v3, v[1:2]
.LBB21_34:
	s_or_b64 exec, exec, s[0:1]
	v_cmp_gt_u32_e32 vcc, 64, v0
	s_waitcnt lgkmcnt(0)
	s_barrier
	s_and_saveexec_b64 s[0:1], vcc
	s_cbranch_execz .LBB21_36
; %bb.35:
	ds_read2st64_b64 v[4:7], v3 offset1:1
	s_waitcnt lgkmcnt(0)
	v_add_co_u32_e32 v1, vcc, v4, v6
	v_addc_co_u32_e32 v2, vcc, v5, v7, vcc
	ds_write_b64 v3, v[1:2]
.LBB21_36:
	s_or_b64 exec, exec, s[0:1]
	v_cmp_gt_u32_e32 vcc, 32, v0
	s_waitcnt lgkmcnt(0)
	s_barrier
	s_and_saveexec_b64 s[0:1], vcc
	s_cbranch_execz .LBB21_38
; %bb.37:
	ds_read2_b64 v[4:7], v3 offset1:32
	s_waitcnt lgkmcnt(0)
	v_add_co_u32_e32 v1, vcc, v4, v6
	v_addc_co_u32_e32 v2, vcc, v5, v7, vcc
	ds_write_b64 v3, v[1:2]
.LBB21_38:
	s_or_b64 exec, exec, s[0:1]
	v_cmp_gt_u32_e32 vcc, 16, v0
	s_waitcnt lgkmcnt(0)
	s_barrier
	s_and_saveexec_b64 s[0:1], vcc
	s_cbranch_execz .LBB21_40
; %bb.39:
	ds_read2_b64 v[4:7], v3 offset1:16
	s_waitcnt lgkmcnt(0)
	v_add_co_u32_e32 v1, vcc, v4, v6
	v_addc_co_u32_e32 v2, vcc, v5, v7, vcc
	ds_write_b64 v3, v[1:2]
.LBB21_40:
	;; [unrolled: 13-line block ×5, first 2 shown]
	s_or_b64 exec, exec, s[0:1]
	v_cmp_eq_u32_e32 vcc, 0, v0
	s_waitcnt lgkmcnt(0)
	s_barrier
	s_and_saveexec_b64 s[0:1], vcc
	s_cbranch_execz .LBB21_48
; %bb.47:
	v_mov_b32_e32 v5, 0
	ds_read_b128 v[1:4], v5
	s_waitcnt lgkmcnt(0)
	v_add_co_u32_e32 v1, vcc, v1, v3
	v_addc_co_u32_e32 v2, vcc, v2, v4, vcc
	ds_write_b64 v5, v[1:2]
.LBB21_48:
	s_or_b64 exec, exec, s[0:1]
	s_waitcnt lgkmcnt(0)
	s_barrier
	v_cmp_eq_u32_e32 vcc, 0, v0
	s_and_saveexec_b64 s[0:1], vcc
	s_cbranch_execz .LBB21_21
.LBB21_49:
	s_load_dwordx2 s[0:1], s[4:5], 0x20
	v_mov_b32_e32 v2, 0
	ds_read_b64 v[0:1], v2
	s_ashr_i32 s7, s6, 31
	s_lshl_b64 s[2:3], s[6:7], 3
	s_waitcnt lgkmcnt(0)
	s_add_u32 s0, s0, s2
	s_addc_u32 s1, s1, s3
	global_store_dwordx2 v2, v[0:1], s[0:1]
	s_endpgm
	.section	.rodata,"a",@progbits
	.p2align	6, 0x0
	.amdhsa_kernel _ZN9rocsparseL14nnz_kernel_colILi256Eli21rocsparse_complex_numIfEEEv16rocsparse_order_T1_S4_PKT2_lPT0_
		.amdhsa_group_segment_fixed_size 2048
		.amdhsa_private_segment_fixed_size 0
		.amdhsa_kernarg_size 40
		.amdhsa_user_sgpr_count 6
		.amdhsa_user_sgpr_private_segment_buffer 1
		.amdhsa_user_sgpr_dispatch_ptr 0
		.amdhsa_user_sgpr_queue_ptr 0
		.amdhsa_user_sgpr_kernarg_segment_ptr 1
		.amdhsa_user_sgpr_dispatch_id 0
		.amdhsa_user_sgpr_flat_scratch_init 0
		.amdhsa_user_sgpr_private_segment_size 0
		.amdhsa_uses_dynamic_stack 0
		.amdhsa_system_sgpr_private_segment_wavefront_offset 0
		.amdhsa_system_sgpr_workgroup_id_x 1
		.amdhsa_system_sgpr_workgroup_id_y 0
		.amdhsa_system_sgpr_workgroup_id_z 0
		.amdhsa_system_sgpr_workgroup_info 0
		.amdhsa_system_vgpr_workitem_id 0
		.amdhsa_next_free_vgpr 20
		.amdhsa_next_free_sgpr 20
		.amdhsa_reserve_vcc 1
		.amdhsa_reserve_flat_scratch 0
		.amdhsa_float_round_mode_32 0
		.amdhsa_float_round_mode_16_64 0
		.amdhsa_float_denorm_mode_32 3
		.amdhsa_float_denorm_mode_16_64 3
		.amdhsa_dx10_clamp 1
		.amdhsa_ieee_mode 1
		.amdhsa_fp16_overflow 0
		.amdhsa_exception_fp_ieee_invalid_op 0
		.amdhsa_exception_fp_denorm_src 0
		.amdhsa_exception_fp_ieee_div_zero 0
		.amdhsa_exception_fp_ieee_overflow 0
		.amdhsa_exception_fp_ieee_underflow 0
		.amdhsa_exception_fp_ieee_inexact 0
		.amdhsa_exception_int_div_zero 0
	.end_amdhsa_kernel
	.section	.text._ZN9rocsparseL14nnz_kernel_colILi256Eli21rocsparse_complex_numIfEEEv16rocsparse_order_T1_S4_PKT2_lPT0_,"axG",@progbits,_ZN9rocsparseL14nnz_kernel_colILi256Eli21rocsparse_complex_numIfEEEv16rocsparse_order_T1_S4_PKT2_lPT0_,comdat
.Lfunc_end21:
	.size	_ZN9rocsparseL14nnz_kernel_colILi256Eli21rocsparse_complex_numIfEEEv16rocsparse_order_T1_S4_PKT2_lPT0_, .Lfunc_end21-_ZN9rocsparseL14nnz_kernel_colILi256Eli21rocsparse_complex_numIfEEEv16rocsparse_order_T1_S4_PKT2_lPT0_
                                        ; -- End function
	.set _ZN9rocsparseL14nnz_kernel_colILi256Eli21rocsparse_complex_numIfEEEv16rocsparse_order_T1_S4_PKT2_lPT0_.num_vgpr, 20
	.set _ZN9rocsparseL14nnz_kernel_colILi256Eli21rocsparse_complex_numIfEEEv16rocsparse_order_T1_S4_PKT2_lPT0_.num_agpr, 0
	.set _ZN9rocsparseL14nnz_kernel_colILi256Eli21rocsparse_complex_numIfEEEv16rocsparse_order_T1_S4_PKT2_lPT0_.numbered_sgpr, 20
	.set _ZN9rocsparseL14nnz_kernel_colILi256Eli21rocsparse_complex_numIfEEEv16rocsparse_order_T1_S4_PKT2_lPT0_.num_named_barrier, 0
	.set _ZN9rocsparseL14nnz_kernel_colILi256Eli21rocsparse_complex_numIfEEEv16rocsparse_order_T1_S4_PKT2_lPT0_.private_seg_size, 0
	.set _ZN9rocsparseL14nnz_kernel_colILi256Eli21rocsparse_complex_numIfEEEv16rocsparse_order_T1_S4_PKT2_lPT0_.uses_vcc, 1
	.set _ZN9rocsparseL14nnz_kernel_colILi256Eli21rocsparse_complex_numIfEEEv16rocsparse_order_T1_S4_PKT2_lPT0_.uses_flat_scratch, 0
	.set _ZN9rocsparseL14nnz_kernel_colILi256Eli21rocsparse_complex_numIfEEEv16rocsparse_order_T1_S4_PKT2_lPT0_.has_dyn_sized_stack, 0
	.set _ZN9rocsparseL14nnz_kernel_colILi256Eli21rocsparse_complex_numIfEEEv16rocsparse_order_T1_S4_PKT2_lPT0_.has_recursion, 0
	.set _ZN9rocsparseL14nnz_kernel_colILi256Eli21rocsparse_complex_numIfEEEv16rocsparse_order_T1_S4_PKT2_lPT0_.has_indirect_call, 0
	.section	.AMDGPU.csdata,"",@progbits
; Kernel info:
; codeLenInByte = 1504
; TotalNumSgprs: 24
; NumVgprs: 20
; ScratchSize: 0
; MemoryBound: 0
; FloatMode: 240
; IeeeMode: 1
; LDSByteSize: 2048 bytes/workgroup (compile time only)
; SGPRBlocks: 2
; VGPRBlocks: 4
; NumSGPRsForWavesPerEU: 24
; NumVGPRsForWavesPerEU: 20
; Occupancy: 10
; WaveLimiterHint : 0
; COMPUTE_PGM_RSRC2:SCRATCH_EN: 0
; COMPUTE_PGM_RSRC2:USER_SGPR: 6
; COMPUTE_PGM_RSRC2:TRAP_HANDLER: 0
; COMPUTE_PGM_RSRC2:TGID_X_EN: 1
; COMPUTE_PGM_RSRC2:TGID_Y_EN: 0
; COMPUTE_PGM_RSRC2:TGID_Z_EN: 0
; COMPUTE_PGM_RSRC2:TIDIG_COMP_CNT: 0
	.section	.text._ZN9rocsparseL14nnz_kernel_rowILi64ELi16Eli21rocsparse_complex_numIdEEEv16rocsparse_order_T2_S4_PKT3_lPT1_,"axG",@progbits,_ZN9rocsparseL14nnz_kernel_rowILi64ELi16Eli21rocsparse_complex_numIdEEEv16rocsparse_order_T2_S4_PKT3_lPT1_,comdat
	.globl	_ZN9rocsparseL14nnz_kernel_rowILi64ELi16Eli21rocsparse_complex_numIdEEEv16rocsparse_order_T2_S4_PKT3_lPT1_ ; -- Begin function _ZN9rocsparseL14nnz_kernel_rowILi64ELi16Eli21rocsparse_complex_numIdEEEv16rocsparse_order_T2_S4_PKT3_lPT1_
	.p2align	8
	.type	_ZN9rocsparseL14nnz_kernel_rowILi64ELi16Eli21rocsparse_complex_numIdEEEv16rocsparse_order_T2_S4_PKT3_lPT1_,@function
_ZN9rocsparseL14nnz_kernel_rowILi64ELi16Eli21rocsparse_complex_numIdEEEv16rocsparse_order_T2_S4_PKT3_lPT1_: ; @_ZN9rocsparseL14nnz_kernel_rowILi64ELi16Eli21rocsparse_complex_numIdEEEv16rocsparse_order_T2_S4_PKT3_lPT1_
; %bb.0:
	s_load_dword s0, s[4:5], 0x34
	s_load_dwordx2 s[26:27], s[4:5], 0x20
	s_load_dwordx8 s[36:43], s[4:5], 0x0
	s_lshl_b32 s33, s6, 8
	s_waitcnt lgkmcnt(0)
	s_and_b32 s0, s0, 0xffff
	v_mad_u32_u24 v22, v1, s0, v0
	s_ashr_i32 s0, s38, 31
	s_lshr_b32 s0, s0, 26
	v_and_b32_e32 v23, 63, v22
	s_add_i32 s39, s38, s0
	v_lshrrev_b32_e32 v0, 4, v22
	v_or_b32_e32 v18, s33, v23
	s_andn2_b32 s39, s39, 63
	v_and_b32_e32 v16, 0x7ffffc, v0
	v_mov_b32_e32 v0, 0
	v_cmp_gt_i32_e32 vcc, s39, v16
	v_mov_b32_e32 v1, v0
	v_mov_b32_e32 v2, v0
	;; [unrolled: 1-line block ×7, first 2 shown]
	v_or_b32_e32 v24, 64, v18
	s_and_saveexec_b64 s[28:29], vcc
	s_cbranch_execz .LBB22_28
; %bb.1:
	v_lshrrev_b32_e32 v15, 6, v22
	v_lshlrev_b32_e32 v17, 2, v15
	v_add_u32_e32 v1, s33, v23
	v_or_b32_e32 v7, 3, v17
	v_mad_u64_u32 v[3:4], s[0:1], s42, v7, 0
	v_mad_u64_u32 v[5:6], s[0:1], s42, v1, 0
	v_ashrrev_i32_e32 v2, 31, v1
	v_or_b32_e32 v12, 2, v17
	v_mad_u64_u32 v[7:8], s[0:1], s43, v7, v[4:5]
	v_mul_lo_u32 v10, s42, v2
	v_mul_lo_u32 v11, s43, v1
	v_mad_u64_u32 v[8:9], s[0:1], s42, v12, 0
	v_mov_b32_e32 v4, v7
	v_add3_u32 v6, v6, v10, v11
	v_mov_b32_e32 v7, v9
	v_mov_b32_e32 v9, s42
	;; [unrolled: 1-line block ×3, first 2 shown]
	v_mad_u64_u32 v[10:11], s[0:1], s42, v17, v[9:10]
	v_mad_u64_u32 v[12:13], s[0:1], s43, v12, v[7:8]
	v_mov_b32_e32 v7, v11
	v_mad_u64_u32 v[13:14], s[0:1], s42, v15, 0
	v_mad_u64_u32 v[19:20], s[0:1], s43, v17, v[7:8]
	v_lshlrev_b64 v[3:4], 4, v[3:4]
	v_lshlrev_b64 v[27:28], 4, v[1:2]
	v_mov_b32_e32 v9, v12
	v_add_co_u32_e32 v17, vcc, v3, v27
	v_lshlrev_b64 v[2:3], 4, v[8:9]
	v_mov_b32_e32 v7, v14
	v_mov_b32_e32 v11, v19
	v_addc_co_u32_e32 v19, vcc, v4, v28, vcc
	v_mad_u64_u32 v[14:15], s[0:1], s43, v15, v[7:8]
	v_add_co_u32_e32 v20, vcc, v2, v27
	v_addc_co_u32_e32 v21, vcc, v3, v28, vcc
	v_lshlrev_b64 v[2:3], 4, v[10:11]
	v_add_u32_e32 v4, 64, v1
	v_add_co_u32_e32 v25, vcc, v2, v27
	v_ashrrev_i32_e32 v7, 31, v4
	v_addc_co_u32_e32 v26, vcc, v3, v28, vcc
	v_lshlrev_b64 v[2:3], 6, v[13:14]
	v_mul_lo_u32 v13, s42, v7
	v_mul_lo_u32 v14, s43, v4
	v_mad_u64_u32 v[7:8], s[0:1], s42, v4, 0
	v_add_u32_e32 v4, 0x80, v1
	v_ashrrev_i32_e32 v9, 31, v4
	v_add_u32_e32 v1, 0xc0, v1
	v_mul_lo_u32 v15, s42, v9
	v_mul_lo_u32 v29, s43, v4
	v_mad_u64_u32 v[9:10], s[0:1], s42, v4, 0
	v_ashrrev_i32_e32 v4, 31, v1
	v_mul_lo_u32 v30, s43, v1
	v_mad_u64_u32 v[11:12], s[0:1], s42, v1, 0
	v_or_b32_e32 v1, 0x80, v18
	v_mul_lo_u32 v4, s42, v4
	v_cmp_gt_i32_e64 s[0:1], s37, v1
	v_or_b32_e32 v1, 0xc0, v18
	v_add_co_u32_e32 v27, vcc, v2, v27
	v_cmp_gt_i32_e64 s[2:3], s37, v1
	v_lshlrev_b64 v[1:2], 4, v[5:6]
	v_addc_co_u32_e32 v28, vcc, v3, v28, vcc
	v_and_b32_e32 v3, 0x7ffffc0, v22
	v_add3_u32 v8, v8, v13, v14
	v_add3_u32 v10, v10, v15, v29
	v_add_co_u32_e32 v29, vcc, v1, v3
	v_add3_u32 v12, v12, v4, v30
	v_addc_co_u32_e32 v30, vcc, 0, v2, vcc
	v_lshlrev_b64 v[1:2], 4, v[7:8]
	s_cmp_lg_u32 s36, 1
	v_add_co_u32_e32 v31, vcc, v1, v3
	v_addc_co_u32_e32 v32, vcc, 0, v2, vcc
	v_lshlrev_b64 v[1:2], 4, v[9:10]
	s_cselect_b64 s[30:31], -1, 0
	v_add_co_u32_e32 v33, vcc, v1, v3
	v_addc_co_u32_e32 v34, vcc, 0, v2, vcc
	v_lshlrev_b64 v[1:2], 4, v[11:12]
	v_cmp_gt_i32_e64 s[4:5], s37, v18
	v_add_co_u32_e32 v35, vcc, v1, v3
	v_addc_co_u32_e32 v36, vcc, 0, v2, vcc
	v_cmp_gt_i32_e64 s[6:7], s37, v24
	s_lshl_b64 s[34:35], s[42:43], 10
	v_mov_b32_e32 v1, v0
	v_mov_b32_e32 v2, v0
	;; [unrolled: 1-line block ×7, first 2 shown]
	s_mov_b64 s[44:45], 0
	s_branch .LBB22_4
.LBB22_2:                               ;   in Loop: Header=BB22_4 Depth=1
	v_mov_b32_e32 v0, v8
	v_mov_b32_e32 v1, v9
	;; [unrolled: 1-line block ×8, first 2 shown]
.LBB22_3:                               ;   in Loop: Header=BB22_4 Depth=1
	s_or_b64 exec, exec, s[22:23]
	v_add_co_u32_e32 v29, vcc, 0x400, v29
	v_addc_co_u32_e32 v30, vcc, 0, v30, vcc
	v_mov_b32_e32 v8, s35
	v_add_co_u32_e32 v17, vcc, s34, v17
	v_addc_co_u32_e32 v19, vcc, v19, v8, vcc
	v_add_co_u32_e32 v31, vcc, 0x400, v31
	v_addc_co_u32_e32 v32, vcc, 0, v32, vcc
	;; [unrolled: 2-line block ×5, first 2 shown]
	v_add_co_u32_e32 v35, vcc, 0x400, v35
	v_add_u32_e32 v16, 64, v16
	v_addc_co_u32_e32 v36, vcc, 0, v36, vcc
	v_cmp_le_i32_e32 vcc, s39, v16
	s_or_b64 s[44:45], vcc, s[44:45]
	v_add_co_u32_e32 v27, vcc, s34, v27
	v_addc_co_u32_e32 v28, vcc, v28, v8, vcc
	s_andn2_b64 exec, exec, s[44:45]
	s_cbranch_execz .LBB22_27
.LBB22_4:                               ; =>This Inner Loop Header: Depth=1
	v_cndmask_b32_e64 v8, 0, 1, s[30:31]
	v_cmp_ne_u32_e64 s[8:9], 1, v8
	s_and_saveexec_b64 s[46:47], s[4:5]
	s_cbranch_execnz .LBB22_8
; %bb.5:                                ;   in Loop: Header=BB22_4 Depth=1
	s_or_b64 exec, exec, s[46:47]
	s_and_saveexec_b64 s[24:25], s[6:7]
	s_cbranch_execnz .LBB22_13
.LBB22_6:                               ;   in Loop: Header=BB22_4 Depth=1
	s_or_b64 exec, exec, s[24:25]
	s_and_saveexec_b64 s[24:25], s[0:1]
	s_cbranch_execnz .LBB22_18
.LBB22_7:                               ;   in Loop: Header=BB22_4 Depth=1
	s_or_b64 exec, exec, s[24:25]
	s_and_saveexec_b64 s[22:23], s[2:3]
	s_cbranch_execz .LBB22_3
	s_branch .LBB22_23
.LBB22_8:                               ;   in Loop: Header=BB22_4 Depth=1
	s_and_b64 vcc, exec, s[8:9]
	s_mov_b64 s[10:11], -1
                                        ; implicit-def: $vgpr8_vgpr9_vgpr10_vgpr11_vgpr12_vgpr13_vgpr14_vgpr15
	s_cbranch_vccnz .LBB22_10
; %bb.9:                                ;   in Loop: Header=BB22_4 Depth=1
	v_add_co_u32_e32 v41, vcc, s40, v29
	v_mov_b32_e32 v8, s41
	v_addc_co_u32_e32 v42, vcc, v8, v30, vcc
	global_load_dwordx4 v[8:11], v[41:42], off
	global_load_dwordx4 v[12:15], v[41:42], off offset:16
	global_load_dwordx4 v[37:40], v[41:42], off offset:32
	s_nop 0
	global_load_dwordx4 v[41:44], v[41:42], off offset:48
	v_add_co_u32_e64 v45, s[16:17], 1, v0
	s_waitcnt vmcnt(3)
	v_cmp_neq_f64_e32 vcc, 0, v[8:9]
	v_cmp_neq_f64_e64 s[10:11], 0, v[10:11]
	s_waitcnt vmcnt(2)
	v_cmp_neq_f64_e64 s[12:13], 0, v[12:13]
	v_cmp_neq_f64_e64 s[14:15], 0, v[14:15]
	s_waitcnt vmcnt(1)
	v_cmp_neq_f64_e64 s[18:19], 0, v[37:38]
	;; [unrolled: 3-line block ×3, first 2 shown]
	v_cmp_neq_f64_e64 s[24:25], 0, v[43:44]
	v_addc_co_u32_e64 v8, s[16:17], 0, v1, s[16:17]
	s_or_b64 vcc, vcc, s[10:11]
	v_cndmask_b32_e32 v9, v0, v45, vcc
	s_or_b64 s[10:11], s[12:13], s[14:15]
	v_cndmask_b32_e32 v8, v1, v8, vcc
	v_add_co_u32_e32 v37, vcc, 1, v9
	v_addc_co_u32_e32 v38, vcc, 0, v8, vcc
	v_cndmask_b32_e64 v9, v9, v37, s[10:11]
	s_or_b64 s[12:13], s[18:19], s[20:21]
	v_cndmask_b32_e64 v8, v8, v38, s[10:11]
	v_add_co_u32_e32 v37, vcc, 1, v9
	v_addc_co_u32_e32 v38, vcc, 0, v8, vcc
	v_cndmask_b32_e64 v9, v9, v37, s[12:13]
	v_cndmask_b32_e64 v37, v8, v38, s[12:13]
	v_add_co_u32_e32 v8, vcc, 1, v9
	s_or_b64 s[14:15], s[22:23], s[24:25]
	v_addc_co_u32_e32 v38, vcc, 0, v37, vcc
	v_mov_b32_e32 v10, v2
	v_mov_b32_e32 v11, v3
	;; [unrolled: 1-line block ×6, first 2 shown]
	v_cndmask_b32_e64 v8, v9, v8, s[14:15]
	v_cndmask_b32_e64 v9, v37, v38, s[14:15]
	s_mov_b64 s[10:11], 0
.LBB22_10:                              ;   in Loop: Header=BB22_4 Depth=1
	s_andn2_b64 vcc, exec, s[10:11]
	s_cbranch_vccnz .LBB22_12
; %bb.11:                               ;   in Loop: Header=BB22_4 Depth=1
	v_mov_b32_e32 v9, s41
	v_add_co_u32_e32 v8, vcc, s40, v27
	v_addc_co_u32_e32 v9, vcc, v9, v28, vcc
	v_mov_b32_e32 v10, s41
	v_add_co_u32_e32 v12, vcc, s40, v25
	v_addc_co_u32_e32 v13, vcc, v10, v26, vcc
	global_load_dwordx4 v[8:11], v[8:9], off
	s_nop 0
	global_load_dwordx4 v[12:15], v[12:13], off
	v_mov_b32_e32 v38, s41
	v_add_co_u32_e32 v37, vcc, s40, v20
	v_addc_co_u32_e32 v38, vcc, v38, v21, vcc
	global_load_dwordx4 v[37:40], v[37:38], off
	v_mov_b32_e32 v42, s41
	v_add_co_u32_e32 v41, vcc, s40, v17
	v_addc_co_u32_e32 v42, vcc, v42, v19, vcc
	global_load_dwordx4 v[41:44], v[41:42], off
	s_waitcnt vmcnt(3)
	v_cmp_neq_f64_e32 vcc, 0, v[8:9]
	v_cmp_neq_f64_e64 s[10:11], 0, v[10:11]
	v_add_co_u32_e64 v8, s[12:13], 1, v0
	v_addc_co_u32_e64 v9, s[12:13], 0, v1, s[12:13]
	s_waitcnt vmcnt(2)
	v_cmp_neq_f64_e64 s[12:13], 0, v[12:13]
	v_cmp_neq_f64_e64 s[14:15], 0, v[14:15]
	s_waitcnt vmcnt(1)
	v_cmp_neq_f64_e64 s[16:17], 0, v[37:38]
	v_cmp_neq_f64_e64 s[18:19], 0, v[39:40]
	s_or_b64 vcc, vcc, s[10:11]
	v_cndmask_b32_e32 v0, v0, v8, vcc
	v_cndmask_b32_e32 v1, v1, v9, vcc
	v_add_co_u32_e32 v8, vcc, 1, v0
	v_addc_co_u32_e32 v9, vcc, 0, v1, vcc
	s_waitcnt vmcnt(0)
	v_cmp_neq_f64_e64 s[20:21], 0, v[41:42]
	v_cmp_neq_f64_e64 s[22:23], 0, v[43:44]
	s_or_b64 vcc, s[12:13], s[14:15]
	v_cndmask_b32_e32 v0, v0, v8, vcc
	v_cndmask_b32_e32 v1, v1, v9, vcc
	v_add_co_u32_e32 v8, vcc, 1, v0
	v_addc_co_u32_e32 v9, vcc, 0, v1, vcc
	s_or_b64 vcc, s[16:17], s[18:19]
	v_cndmask_b32_e32 v0, v0, v8, vcc
	v_cndmask_b32_e32 v1, v1, v9, vcc
	v_add_co_u32_e32 v8, vcc, 1, v0
	v_addc_co_u32_e32 v9, vcc, 0, v1, vcc
	s_or_b64 vcc, s[20:21], s[22:23]
	v_cndmask_b32_e32 v1, v1, v9, vcc
	v_cndmask_b32_e32 v0, v0, v8, vcc
	v_mov_b32_e32 v15, v7
	v_mov_b32_e32 v14, v6
	;; [unrolled: 1-line block ×8, first 2 shown]
.LBB22_12:                              ;   in Loop: Header=BB22_4 Depth=1
	v_mov_b32_e32 v0, v8
	v_mov_b32_e32 v1, v9
	;; [unrolled: 1-line block ×8, first 2 shown]
	s_or_b64 exec, exec, s[46:47]
	s_and_saveexec_b64 s[24:25], s[6:7]
	s_cbranch_execz .LBB22_6
.LBB22_13:                              ;   in Loop: Header=BB22_4 Depth=1
	s_and_b64 vcc, exec, s[8:9]
	s_mov_b64 s[10:11], -1
                                        ; implicit-def: $vgpr8_vgpr9_vgpr10_vgpr11_vgpr12_vgpr13_vgpr14_vgpr15
	s_cbranch_vccnz .LBB22_15
; %bb.14:                               ;   in Loop: Header=BB22_4 Depth=1
	v_add_co_u32_e32 v41, vcc, s40, v31
	v_mov_b32_e32 v8, s41
	v_addc_co_u32_e32 v42, vcc, v8, v32, vcc
	global_load_dwordx4 v[8:11], v[41:42], off offset:48
	global_load_dwordx4 v[12:15], v[41:42], off offset:32
	;; [unrolled: 1-line block ×3, first 2 shown]
	s_nop 0
	global_load_dwordx4 v[41:44], v[41:42], off
	s_waitcnt vmcnt(0)
	v_cmp_neq_f64_e32 vcc, 0, v[41:42]
	v_cmp_neq_f64_e64 s[10:11], 0, v[43:44]
	s_or_b64 vcc, vcc, s[10:11]
	v_add_co_u32_e64 v41, s[10:11], 1, v2
	v_addc_co_u32_e64 v42, s[10:11], 0, v3, s[10:11]
	v_cndmask_b32_e32 v42, v3, v42, vcc
	v_cndmask_b32_e32 v41, v2, v41, vcc
	v_cmp_neq_f64_e32 vcc, 0, v[37:38]
	v_cmp_neq_f64_e64 s[10:11], 0, v[39:40]
	s_or_b64 vcc, vcc, s[10:11]
	v_add_co_u32_e64 v37, s[10:11], 1, v41
	v_addc_co_u32_e64 v38, s[10:11], 0, v42, s[10:11]
	v_cndmask_b32_e32 v38, v42, v38, vcc
	v_cndmask_b32_e32 v37, v41, v37, vcc
	v_cmp_neq_f64_e32 vcc, 0, v[12:13]
	v_cmp_neq_f64_e64 s[10:11], 0, v[14:15]
	v_mov_b32_e32 v14, v6
	v_mov_b32_e32 v15, v7
	s_or_b64 vcc, vcc, s[10:11]
	v_add_co_u32_e64 v12, s[10:11], 1, v37
	v_addc_co_u32_e64 v13, s[10:11], 0, v38, s[10:11]
	v_cndmask_b32_e32 v13, v38, v13, vcc
	v_cndmask_b32_e32 v12, v37, v12, vcc
	v_cmp_neq_f64_e32 vcc, 0, v[8:9]
	v_cmp_neq_f64_e64 s[10:11], 0, v[10:11]
	s_or_b64 vcc, vcc, s[10:11]
	v_add_co_u32_e64 v8, s[10:11], 1, v12
	v_addc_co_u32_e64 v9, s[10:11], 0, v13, s[10:11]
	v_cndmask_b32_e32 v11, v13, v9, vcc
	v_cndmask_b32_e32 v10, v12, v8, vcc
	v_mov_b32_e32 v8, v0
	v_mov_b32_e32 v9, v1
	v_mov_b32_e32 v12, v4
	v_mov_b32_e32 v13, v5
	s_mov_b64 s[10:11], 0
.LBB22_15:                              ;   in Loop: Header=BB22_4 Depth=1
	s_andn2_b64 vcc, exec, s[10:11]
	s_cbranch_vccnz .LBB22_17
; %bb.16:                               ;   in Loop: Header=BB22_4 Depth=1
	v_mov_b32_e32 v9, s41
	v_add_co_u32_e32 v8, vcc, s40, v27
	v_addc_co_u32_e32 v9, vcc, v9, v28, vcc
	v_mov_b32_e32 v10, s41
	v_add_co_u32_e32 v12, vcc, s40, v25
	v_addc_co_u32_e32 v13, vcc, v10, v26, vcc
	global_load_dwordx4 v[8:11], v[8:9], off offset:1024
	s_nop 0
	global_load_dwordx4 v[12:15], v[12:13], off offset:1024
	v_mov_b32_e32 v38, s41
	v_add_co_u32_e32 v37, vcc, s40, v20
	v_addc_co_u32_e32 v38, vcc, v38, v21, vcc
	global_load_dwordx4 v[37:40], v[37:38], off offset:1024
	v_mov_b32_e32 v42, s41
	v_add_co_u32_e32 v41, vcc, s40, v17
	v_addc_co_u32_e32 v42, vcc, v42, v19, vcc
	global_load_dwordx4 v[41:44], v[41:42], off offset:1024
	s_waitcnt vmcnt(3)
	v_cmp_neq_f64_e32 vcc, 0, v[8:9]
	v_cmp_neq_f64_e64 s[10:11], 0, v[10:11]
	v_add_co_u32_e64 v8, s[12:13], 1, v2
	v_addc_co_u32_e64 v9, s[12:13], 0, v3, s[12:13]
	s_waitcnt vmcnt(2)
	v_cmp_neq_f64_e64 s[12:13], 0, v[12:13]
	v_cmp_neq_f64_e64 s[14:15], 0, v[14:15]
	s_waitcnt vmcnt(1)
	v_cmp_neq_f64_e64 s[16:17], 0, v[37:38]
	v_cmp_neq_f64_e64 s[18:19], 0, v[39:40]
	s_or_b64 vcc, vcc, s[10:11]
	v_cndmask_b32_e32 v2, v2, v8, vcc
	v_cndmask_b32_e32 v3, v3, v9, vcc
	v_add_co_u32_e32 v8, vcc, 1, v2
	v_addc_co_u32_e32 v9, vcc, 0, v3, vcc
	s_waitcnt vmcnt(0)
	v_cmp_neq_f64_e64 s[20:21], 0, v[41:42]
	v_cmp_neq_f64_e64 s[22:23], 0, v[43:44]
	s_or_b64 vcc, s[12:13], s[14:15]
	v_cndmask_b32_e32 v2, v2, v8, vcc
	v_cndmask_b32_e32 v3, v3, v9, vcc
	v_add_co_u32_e32 v8, vcc, 1, v2
	v_addc_co_u32_e32 v9, vcc, 0, v3, vcc
	s_or_b64 vcc, s[16:17], s[18:19]
	v_cndmask_b32_e32 v2, v2, v8, vcc
	v_cndmask_b32_e32 v3, v3, v9, vcc
	v_add_co_u32_e32 v8, vcc, 1, v2
	v_addc_co_u32_e32 v9, vcc, 0, v3, vcc
	s_or_b64 vcc, s[20:21], s[22:23]
	v_cndmask_b32_e32 v3, v3, v9, vcc
	v_cndmask_b32_e32 v2, v2, v8, vcc
	v_mov_b32_e32 v15, v7
	v_mov_b32_e32 v14, v6
	;; [unrolled: 1-line block ×8, first 2 shown]
.LBB22_17:                              ;   in Loop: Header=BB22_4 Depth=1
	v_mov_b32_e32 v0, v8
	v_mov_b32_e32 v1, v9
	;; [unrolled: 1-line block ×8, first 2 shown]
	s_or_b64 exec, exec, s[24:25]
	s_and_saveexec_b64 s[24:25], s[0:1]
	s_cbranch_execz .LBB22_7
.LBB22_18:                              ;   in Loop: Header=BB22_4 Depth=1
	s_and_b64 vcc, exec, s[8:9]
	s_mov_b64 s[10:11], -1
                                        ; implicit-def: $vgpr8_vgpr9_vgpr10_vgpr11_vgpr12_vgpr13_vgpr14_vgpr15
	s_cbranch_vccnz .LBB22_20
; %bb.19:                               ;   in Loop: Header=BB22_4 Depth=1
	v_add_co_u32_e32 v41, vcc, s40, v33
	v_mov_b32_e32 v8, s41
	v_addc_co_u32_e32 v42, vcc, v8, v34, vcc
	global_load_dwordx4 v[8:11], v[41:42], off offset:48
	global_load_dwordx4 v[12:15], v[41:42], off offset:32
	;; [unrolled: 1-line block ×3, first 2 shown]
	s_nop 0
	global_load_dwordx4 v[41:44], v[41:42], off
	s_waitcnt vmcnt(0)
	v_cmp_neq_f64_e32 vcc, 0, v[41:42]
	v_cmp_neq_f64_e64 s[10:11], 0, v[43:44]
	s_or_b64 vcc, vcc, s[10:11]
	v_add_co_u32_e64 v41, s[10:11], 1, v4
	v_addc_co_u32_e64 v42, s[10:11], 0, v5, s[10:11]
	v_cndmask_b32_e32 v42, v5, v42, vcc
	v_cndmask_b32_e32 v41, v4, v41, vcc
	v_cmp_neq_f64_e32 vcc, 0, v[37:38]
	v_cmp_neq_f64_e64 s[10:11], 0, v[39:40]
	s_or_b64 vcc, vcc, s[10:11]
	v_add_co_u32_e64 v37, s[10:11], 1, v41
	v_addc_co_u32_e64 v38, s[10:11], 0, v42, s[10:11]
	v_cndmask_b32_e32 v38, v42, v38, vcc
	v_cndmask_b32_e32 v37, v41, v37, vcc
	v_cmp_neq_f64_e32 vcc, 0, v[12:13]
	v_cmp_neq_f64_e64 s[10:11], 0, v[14:15]
	v_mov_b32_e32 v14, v6
	v_mov_b32_e32 v15, v7
	s_or_b64 vcc, vcc, s[10:11]
	v_add_co_u32_e64 v12, s[10:11], 1, v37
	v_addc_co_u32_e64 v13, s[10:11], 0, v38, s[10:11]
	v_cndmask_b32_e32 v13, v38, v13, vcc
	v_cndmask_b32_e32 v12, v37, v12, vcc
	v_cmp_neq_f64_e32 vcc, 0, v[8:9]
	v_cmp_neq_f64_e64 s[10:11], 0, v[10:11]
	v_mov_b32_e32 v10, v2
	v_mov_b32_e32 v11, v3
	s_or_b64 vcc, vcc, s[10:11]
	v_add_co_u32_e64 v8, s[10:11], 1, v12
	v_addc_co_u32_e64 v9, s[10:11], 0, v13, s[10:11]
	v_cndmask_b32_e32 v13, v13, v9, vcc
	v_cndmask_b32_e32 v12, v12, v8, vcc
	v_mov_b32_e32 v8, v0
	v_mov_b32_e32 v9, v1
	s_mov_b64 s[10:11], 0
.LBB22_20:                              ;   in Loop: Header=BB22_4 Depth=1
	s_andn2_b64 vcc, exec, s[10:11]
	s_cbranch_vccnz .LBB22_22
; %bb.21:                               ;   in Loop: Header=BB22_4 Depth=1
	v_mov_b32_e32 v9, s41
	v_add_co_u32_e32 v8, vcc, s40, v27
	v_addc_co_u32_e32 v9, vcc, v9, v28, vcc
	v_mov_b32_e32 v10, s41
	v_add_co_u32_e32 v12, vcc, s40, v25
	v_addc_co_u32_e32 v13, vcc, v10, v26, vcc
	global_load_dwordx4 v[8:11], v[8:9], off offset:2048
	s_nop 0
	global_load_dwordx4 v[12:15], v[12:13], off offset:2048
	v_mov_b32_e32 v38, s41
	v_add_co_u32_e32 v37, vcc, s40, v20
	v_addc_co_u32_e32 v38, vcc, v38, v21, vcc
	global_load_dwordx4 v[37:40], v[37:38], off offset:2048
	v_mov_b32_e32 v42, s41
	v_add_co_u32_e32 v41, vcc, s40, v17
	v_addc_co_u32_e32 v42, vcc, v42, v19, vcc
	global_load_dwordx4 v[41:44], v[41:42], off offset:2048
	s_waitcnt vmcnt(3)
	v_cmp_neq_f64_e32 vcc, 0, v[8:9]
	v_cmp_neq_f64_e64 s[10:11], 0, v[10:11]
	v_add_co_u32_e64 v8, s[12:13], 1, v4
	v_addc_co_u32_e64 v9, s[12:13], 0, v5, s[12:13]
	s_waitcnt vmcnt(2)
	v_cmp_neq_f64_e64 s[12:13], 0, v[12:13]
	v_cmp_neq_f64_e64 s[14:15], 0, v[14:15]
	s_waitcnt vmcnt(1)
	v_cmp_neq_f64_e64 s[16:17], 0, v[37:38]
	v_cmp_neq_f64_e64 s[18:19], 0, v[39:40]
	s_or_b64 vcc, vcc, s[10:11]
	v_cndmask_b32_e32 v4, v4, v8, vcc
	v_cndmask_b32_e32 v5, v5, v9, vcc
	v_add_co_u32_e32 v8, vcc, 1, v4
	v_addc_co_u32_e32 v9, vcc, 0, v5, vcc
	s_waitcnt vmcnt(0)
	v_cmp_neq_f64_e64 s[20:21], 0, v[41:42]
	v_cmp_neq_f64_e64 s[22:23], 0, v[43:44]
	s_or_b64 vcc, s[12:13], s[14:15]
	v_cndmask_b32_e32 v4, v4, v8, vcc
	v_cndmask_b32_e32 v5, v5, v9, vcc
	v_add_co_u32_e32 v8, vcc, 1, v4
	v_addc_co_u32_e32 v9, vcc, 0, v5, vcc
	s_or_b64 vcc, s[16:17], s[18:19]
	v_cndmask_b32_e32 v4, v4, v8, vcc
	v_cndmask_b32_e32 v5, v5, v9, vcc
	v_add_co_u32_e32 v8, vcc, 1, v4
	v_addc_co_u32_e32 v9, vcc, 0, v5, vcc
	s_or_b64 vcc, s[20:21], s[22:23]
	v_cndmask_b32_e32 v5, v5, v9, vcc
	v_cndmask_b32_e32 v4, v4, v8, vcc
	v_mov_b32_e32 v15, v7
	v_mov_b32_e32 v14, v6
	;; [unrolled: 1-line block ×8, first 2 shown]
.LBB22_22:                              ;   in Loop: Header=BB22_4 Depth=1
	v_mov_b32_e32 v0, v8
	v_mov_b32_e32 v1, v9
	;; [unrolled: 1-line block ×8, first 2 shown]
	s_or_b64 exec, exec, s[24:25]
	s_and_saveexec_b64 s[22:23], s[2:3]
	s_cbranch_execz .LBB22_3
.LBB22_23:                              ;   in Loop: Header=BB22_4 Depth=1
	s_and_b64 vcc, exec, s[8:9]
	s_mov_b64 s[8:9], -1
                                        ; implicit-def: $vgpr8_vgpr9_vgpr10_vgpr11_vgpr12_vgpr13_vgpr14_vgpr15
	s_cbranch_vccnz .LBB22_25
; %bb.24:                               ;   in Loop: Header=BB22_4 Depth=1
	v_add_co_u32_e32 v41, vcc, s40, v35
	v_mov_b32_e32 v8, s41
	v_addc_co_u32_e32 v42, vcc, v8, v36, vcc
	global_load_dwordx4 v[8:11], v[41:42], off offset:48
	global_load_dwordx4 v[12:15], v[41:42], off offset:32
	global_load_dwordx4 v[37:40], v[41:42], off offset:16
	s_nop 0
	global_load_dwordx4 v[41:44], v[41:42], off
	s_waitcnt vmcnt(0)
	v_cmp_neq_f64_e32 vcc, 0, v[41:42]
	v_cmp_neq_f64_e64 s[8:9], 0, v[43:44]
	s_or_b64 vcc, vcc, s[8:9]
	v_add_co_u32_e64 v41, s[8:9], 1, v6
	v_addc_co_u32_e64 v42, s[8:9], 0, v7, s[8:9]
	v_cndmask_b32_e32 v42, v7, v42, vcc
	v_cndmask_b32_e32 v41, v6, v41, vcc
	v_cmp_neq_f64_e32 vcc, 0, v[37:38]
	v_cmp_neq_f64_e64 s[8:9], 0, v[39:40]
	s_or_b64 vcc, vcc, s[8:9]
	v_add_co_u32_e64 v37, s[8:9], 1, v41
	v_addc_co_u32_e64 v38, s[8:9], 0, v42, s[8:9]
	v_cndmask_b32_e32 v38, v42, v38, vcc
	v_cndmask_b32_e32 v37, v41, v37, vcc
	;; [unrolled: 7-line block ×3, first 2 shown]
	v_cmp_neq_f64_e32 vcc, 0, v[8:9]
	v_cmp_neq_f64_e64 s[8:9], 0, v[10:11]
	v_mov_b32_e32 v10, v2
	v_mov_b32_e32 v11, v3
	s_or_b64 vcc, vcc, s[8:9]
	v_add_co_u32_e64 v8, s[8:9], 1, v12
	v_addc_co_u32_e64 v9, s[8:9], 0, v13, s[8:9]
	v_cndmask_b32_e32 v15, v13, v9, vcc
	v_cndmask_b32_e32 v14, v12, v8, vcc
	v_mov_b32_e32 v8, v0
	v_mov_b32_e32 v9, v1
	;; [unrolled: 1-line block ×4, first 2 shown]
	s_mov_b64 s[8:9], 0
.LBB22_25:                              ;   in Loop: Header=BB22_4 Depth=1
	s_andn2_b64 vcc, exec, s[8:9]
	s_cbranch_vccnz .LBB22_2
; %bb.26:                               ;   in Loop: Header=BB22_4 Depth=1
	v_mov_b32_e32 v9, s41
	v_add_co_u32_e32 v8, vcc, s40, v27
	v_addc_co_u32_e32 v9, vcc, v9, v28, vcc
	v_mov_b32_e32 v10, s41
	v_add_co_u32_e32 v12, vcc, s40, v25
	v_addc_co_u32_e32 v13, vcc, v10, v26, vcc
	global_load_dwordx4 v[8:11], v[8:9], off offset:3072
	s_nop 0
	global_load_dwordx4 v[12:15], v[12:13], off offset:3072
	v_mov_b32_e32 v38, s41
	v_add_co_u32_e32 v37, vcc, s40, v20
	v_addc_co_u32_e32 v38, vcc, v38, v21, vcc
	global_load_dwordx4 v[37:40], v[37:38], off offset:3072
	v_mov_b32_e32 v42, s41
	v_add_co_u32_e32 v41, vcc, s40, v17
	v_addc_co_u32_e32 v42, vcc, v42, v19, vcc
	global_load_dwordx4 v[41:44], v[41:42], off offset:3072
	s_waitcnt vmcnt(3)
	v_cmp_neq_f64_e32 vcc, 0, v[8:9]
	v_cmp_neq_f64_e64 s[8:9], 0, v[10:11]
	v_add_co_u32_e64 v8, s[10:11], 1, v6
	v_addc_co_u32_e64 v9, s[10:11], 0, v7, s[10:11]
	s_waitcnt vmcnt(2)
	v_cmp_neq_f64_e64 s[10:11], 0, v[12:13]
	v_cmp_neq_f64_e64 s[12:13], 0, v[14:15]
	s_waitcnt vmcnt(1)
	v_cmp_neq_f64_e64 s[14:15], 0, v[37:38]
	v_cmp_neq_f64_e64 s[16:17], 0, v[39:40]
	s_or_b64 vcc, vcc, s[8:9]
	v_cndmask_b32_e32 v6, v6, v8, vcc
	v_cndmask_b32_e32 v7, v7, v9, vcc
	v_add_co_u32_e32 v8, vcc, 1, v6
	v_addc_co_u32_e32 v9, vcc, 0, v7, vcc
	s_waitcnt vmcnt(0)
	v_cmp_neq_f64_e64 s[18:19], 0, v[41:42]
	v_cmp_neq_f64_e64 s[20:21], 0, v[43:44]
	s_or_b64 vcc, s[10:11], s[12:13]
	v_cndmask_b32_e32 v6, v6, v8, vcc
	v_cndmask_b32_e32 v7, v7, v9, vcc
	v_add_co_u32_e32 v8, vcc, 1, v6
	v_addc_co_u32_e32 v9, vcc, 0, v7, vcc
	s_or_b64 vcc, s[14:15], s[16:17]
	v_cndmask_b32_e32 v6, v6, v8, vcc
	v_cndmask_b32_e32 v7, v7, v9, vcc
	v_add_co_u32_e32 v8, vcc, 1, v6
	v_addc_co_u32_e32 v9, vcc, 0, v7, vcc
	s_or_b64 vcc, s[18:19], s[20:21]
	v_cndmask_b32_e32 v7, v7, v9, vcc
	v_cndmask_b32_e32 v6, v6, v8, vcc
	v_mov_b32_e32 v15, v7
	v_mov_b32_e32 v14, v6
	v_mov_b32_e32 v13, v5
	v_mov_b32_e32 v12, v4
	v_mov_b32_e32 v11, v3
	v_mov_b32_e32 v10, v2
	v_mov_b32_e32 v9, v1
	v_mov_b32_e32 v8, v0
	s_branch .LBB22_2
.LBB22_27:
	s_or_b64 exec, exec, s[44:45]
.LBB22_28:
	s_or_b64 exec, exec, s[28:29]
	s_sub_i32 s0, s38, s39
	s_cmp_lt_i32 s0, 1
	s_cbranch_scc1 .LBB22_126
; %bb.29:
	v_mov_b32_e32 v17, 0
	v_lshlrev_b64 v[8:9], 4, v[16:17]
	s_cmp_eq_u32 s36, 1
	v_mov_b32_e32 v10, s41
	v_add_co_u32_e32 v17, vcc, s40, v8
	s_cselect_b64 s[4:5], -1, 0
	s_cmp_lg_u32 s36, 1
	v_addc_co_u32_e32 v25, vcc, v10, v9, vcc
	s_cselect_b64 s[2:3], -1, 0
	v_cmp_gt_i32_e32 vcc, s37, v18
	v_ashrrev_i32_e32 v19, 31, v18
	s_and_saveexec_b64 s[6:7], vcc
	s_cbranch_execz .LBB22_53
; %bb.30:
	v_mul_lo_u32 v10, s43, v18
	v_mul_lo_u32 v11, s42, v19
	v_mad_u64_u32 v[8:9], s[0:1], s42, v18, 0
	v_add3_u32 v9, v9, v11, v10
	v_lshlrev_b64 v[8:9], 4, v[8:9]
	v_mov_b32_e32 v10, s41
	v_add_co_u32_e32 v20, vcc, v17, v8
	v_addc_co_u32_e32 v21, vcc, v25, v9, vcc
	v_lshlrev_b64 v[8:9], 4, v[18:19]
	v_add_co_u32_e32 v26, vcc, s40, v8
	v_addc_co_u32_e32 v27, vcc, v10, v9, vcc
	v_cmp_gt_i32_e32 vcc, s38, v16
	s_and_saveexec_b64 s[8:9], vcc
	s_cbranch_execz .LBB22_34
; %bb.31:
	v_mov_b32_e32 v8, v20
	s_andn2_b64 vcc, exec, s[4:5]
	v_mov_b32_e32 v9, v21
	s_cbranch_vccnz .LBB22_33
; %bb.32:
	v_mad_u64_u32 v[8:9], s[0:1], s42, v16, 0
	v_mad_u64_u32 v[9:10], s[0:1], s43, v16, v[9:10]
	v_lshlrev_b64 v[8:9], 4, v[8:9]
	v_add_co_u32_e32 v8, vcc, v26, v8
	v_addc_co_u32_e32 v9, vcc, v27, v9, vcc
.LBB22_33:
	global_load_dwordx4 v[8:11], v[8:9], off
	s_waitcnt vmcnt(0)
	v_cmp_neq_f64_e32 vcc, 0, v[8:9]
	v_cmp_neq_f64_e64 s[0:1], 0, v[10:11]
	s_or_b64 s[0:1], vcc, s[0:1]
	v_cndmask_b32_e64 v8, 0, 1, s[0:1]
	v_add_co_u32_e32 v0, vcc, v0, v8
	v_addc_co_u32_e32 v1, vcc, 0, v1, vcc
.LBB22_34:
	s_or_b64 exec, exec, s[8:9]
	v_or_b32_e32 v28, 1, v16
	v_cmp_gt_i32_e32 vcc, s38, v28
	s_and_saveexec_b64 s[8:9], vcc
	s_cbranch_execz .LBB22_40
; %bb.35:
	s_andn2_b64 vcc, exec, s[2:3]
	s_cbranch_vccnz .LBB22_37
; %bb.36:
	global_load_dwordx4 v[8:11], v[20:21], off offset:16
	s_waitcnt vmcnt(0)
	v_cmp_neq_f64_e32 vcc, 0, v[8:9]
	v_cmp_neq_f64_e64 s[0:1], 0, v[10:11]
	v_mov_b32_e32 v15, v7
	v_mov_b32_e32 v8, v0
	v_mov_b32_e32 v9, v1
	v_mov_b32_e32 v14, v6
	v_mov_b32_e32 v13, v5
	v_mov_b32_e32 v12, v4
	v_mov_b32_e32 v11, v3
	s_or_b64 s[0:1], vcc, s[0:1]
	v_cndmask_b32_e64 v8, 0, 1, s[0:1]
	v_add_co_u32_e32 v8, vcc, v0, v8
	v_mov_b32_e32 v10, v2
	v_addc_co_u32_e32 v9, vcc, 0, v1, vcc
	s_cbranch_execz .LBB22_38
	s_branch .LBB22_39
.LBB22_37:
                                        ; implicit-def: $vgpr8_vgpr9_vgpr10_vgpr11_vgpr12_vgpr13_vgpr14_vgpr15
.LBB22_38:
	v_mad_u64_u32 v[8:9], s[0:1], s42, v28, 0
	v_mad_u64_u32 v[9:10], s[0:1], s43, v28, v[9:10]
	v_lshlrev_b64 v[8:9], 4, v[8:9]
	v_add_co_u32_e32 v8, vcc, v26, v8
	v_addc_co_u32_e32 v9, vcc, v27, v9, vcc
	global_load_dwordx4 v[8:11], v[8:9], off
	s_waitcnt vmcnt(0)
	v_cmp_neq_f64_e32 vcc, 0, v[8:9]
	v_cmp_neq_f64_e64 s[0:1], 0, v[10:11]
	s_or_b64 s[0:1], vcc, s[0:1]
	v_cndmask_b32_e64 v8, 0, 1, s[0:1]
	v_add_co_u32_e32 v0, vcc, v0, v8
	v_addc_co_u32_e32 v1, vcc, 0, v1, vcc
	v_mov_b32_e32 v15, v7
	v_mov_b32_e32 v14, v6
	v_mov_b32_e32 v13, v5
	v_mov_b32_e32 v12, v4
	v_mov_b32_e32 v11, v3
	v_mov_b32_e32 v10, v2
	v_mov_b32_e32 v9, v1
	v_mov_b32_e32 v8, v0
.LBB22_39:
	v_mov_b32_e32 v0, v8
	v_mov_b32_e32 v1, v9
	v_mov_b32_e32 v2, v10
	v_mov_b32_e32 v3, v11
	v_mov_b32_e32 v4, v12
	v_mov_b32_e32 v5, v13
	v_mov_b32_e32 v6, v14
	v_mov_b32_e32 v7, v15
.LBB22_40:
	s_or_b64 exec, exec, s[8:9]
	v_or_b32_e32 v28, 2, v16
	v_cmp_gt_i32_e32 vcc, s38, v28
	s_and_saveexec_b64 s[8:9], vcc
	s_cbranch_execz .LBB22_46
; %bb.41:
	s_andn2_b64 vcc, exec, s[2:3]
	s_cbranch_vccnz .LBB22_43
; %bb.42:
	global_load_dwordx4 v[8:11], v[20:21], off offset:32
	s_waitcnt vmcnt(0)
	v_cmp_neq_f64_e32 vcc, 0, v[8:9]
	v_cmp_neq_f64_e64 s[0:1], 0, v[10:11]
	v_mov_b32_e32 v15, v7
	v_mov_b32_e32 v8, v0
	v_mov_b32_e32 v9, v1
	v_mov_b32_e32 v14, v6
	v_mov_b32_e32 v13, v5
	v_mov_b32_e32 v12, v4
	v_mov_b32_e32 v11, v3
	s_or_b64 s[0:1], vcc, s[0:1]
	v_cndmask_b32_e64 v8, 0, 1, s[0:1]
	v_add_co_u32_e32 v8, vcc, v0, v8
	v_mov_b32_e32 v10, v2
	v_addc_co_u32_e32 v9, vcc, 0, v1, vcc
	s_cbranch_execz .LBB22_44
	s_branch .LBB22_45
.LBB22_43:
                                        ; implicit-def: $vgpr8_vgpr9_vgpr10_vgpr11_vgpr12_vgpr13_vgpr14_vgpr15
.LBB22_44:
	v_mad_u64_u32 v[8:9], s[0:1], s42, v28, 0
	v_mad_u64_u32 v[9:10], s[0:1], s43, v28, v[9:10]
	v_lshlrev_b64 v[8:9], 4, v[8:9]
	v_add_co_u32_e32 v8, vcc, v26, v8
	v_addc_co_u32_e32 v9, vcc, v27, v9, vcc
	global_load_dwordx4 v[8:11], v[8:9], off
	s_waitcnt vmcnt(0)
	v_cmp_neq_f64_e32 vcc, 0, v[8:9]
	v_cmp_neq_f64_e64 s[0:1], 0, v[10:11]
	s_or_b64 s[0:1], vcc, s[0:1]
	v_cndmask_b32_e64 v8, 0, 1, s[0:1]
	v_add_co_u32_e32 v0, vcc, v0, v8
	v_addc_co_u32_e32 v1, vcc, 0, v1, vcc
	v_mov_b32_e32 v15, v7
	v_mov_b32_e32 v14, v6
	v_mov_b32_e32 v13, v5
	v_mov_b32_e32 v12, v4
	v_mov_b32_e32 v11, v3
	v_mov_b32_e32 v10, v2
	v_mov_b32_e32 v9, v1
	v_mov_b32_e32 v8, v0
.LBB22_45:
	v_mov_b32_e32 v0, v8
	v_mov_b32_e32 v1, v9
	v_mov_b32_e32 v2, v10
	v_mov_b32_e32 v3, v11
	v_mov_b32_e32 v4, v12
	v_mov_b32_e32 v5, v13
	v_mov_b32_e32 v6, v14
	v_mov_b32_e32 v7, v15
.LBB22_46:
	;; [unrolled: 61-line block ×3, first 2 shown]
	s_or_b64 exec, exec, s[8:9]
.LBB22_53:
	s_or_b64 exec, exec, s[6:7]
	v_cmp_gt_i32_e32 vcc, s37, v24
	s_and_saveexec_b64 s[6:7], vcc
	s_cbranch_execz .LBB22_77
; %bb.54:
	v_ashrrev_i32_e32 v10, 31, v24
	v_mul_lo_u32 v11, s43, v24
	v_mad_u64_u32 v[8:9], s[0:1], s42, v24, 0
	v_mul_lo_u32 v10, s42, v10
	v_add3_u32 v9, v9, v10, v11
	v_lshlrev_b64 v[8:9], 4, v[8:9]
	v_mov_b32_e32 v10, s41
	v_add_co_u32_e32 v20, vcc, v17, v8
	v_addc_co_u32_e32 v21, vcc, v25, v9, vcc
	v_lshlrev_b64 v[8:9], 4, v[18:19]
	v_add_co_u32_e32 v24, vcc, s40, v8
	v_addc_co_u32_e32 v26, vcc, v10, v9, vcc
	v_cmp_gt_i32_e32 vcc, s38, v16
	s_and_saveexec_b64 s[8:9], vcc
	s_cbranch_execz .LBB22_58
; %bb.55:
	v_mov_b32_e32 v8, v20
	s_andn2_b64 vcc, exec, s[4:5]
	v_mov_b32_e32 v9, v21
	s_cbranch_vccnz .LBB22_57
; %bb.56:
	v_mad_u64_u32 v[8:9], s[0:1], s42, v16, 0
	v_mad_u64_u32 v[9:10], s[0:1], s43, v16, v[9:10]
	v_lshlrev_b64 v[8:9], 4, v[8:9]
	v_add_co_u32_e32 v8, vcc, v24, v8
	v_addc_co_u32_e32 v9, vcc, v26, v9, vcc
	v_add_co_u32_e32 v8, vcc, 0x400, v8
	v_addc_co_u32_e32 v9, vcc, 0, v9, vcc
.LBB22_57:
	global_load_dwordx4 v[8:11], v[8:9], off
	s_waitcnt vmcnt(0)
	v_cmp_neq_f64_e32 vcc, 0, v[8:9]
	v_cmp_neq_f64_e64 s[0:1], 0, v[10:11]
	s_or_b64 s[0:1], vcc, s[0:1]
	v_cndmask_b32_e64 v8, 0, 1, s[0:1]
	v_add_co_u32_e32 v2, vcc, v2, v8
	v_addc_co_u32_e32 v3, vcc, 0, v3, vcc
.LBB22_58:
	s_or_b64 exec, exec, s[8:9]
	v_or_b32_e32 v27, 1, v16
	v_cmp_gt_i32_e32 vcc, s38, v27
	s_and_saveexec_b64 s[8:9], vcc
	s_cbranch_execz .LBB22_64
; %bb.59:
	s_andn2_b64 vcc, exec, s[2:3]
	s_cbranch_vccnz .LBB22_61
; %bb.60:
	global_load_dwordx4 v[8:11], v[20:21], off offset:16
	s_waitcnt vmcnt(0)
	v_cmp_neq_f64_e32 vcc, 0, v[8:9]
	v_cmp_neq_f64_e64 s[0:1], 0, v[10:11]
	v_mov_b32_e32 v15, v7
	v_mov_b32_e32 v10, v2
	v_mov_b32_e32 v11, v3
	v_mov_b32_e32 v14, v6
	v_mov_b32_e32 v13, v5
	v_mov_b32_e32 v12, v4
	v_mov_b32_e32 v9, v1
	s_or_b64 s[0:1], vcc, s[0:1]
	v_cndmask_b32_e64 v10, 0, 1, s[0:1]
	v_add_co_u32_e32 v10, vcc, v2, v10
	v_mov_b32_e32 v8, v0
	v_addc_co_u32_e32 v11, vcc, 0, v3, vcc
	s_cbranch_execz .LBB22_62
	s_branch .LBB22_63
.LBB22_61:
                                        ; implicit-def: $vgpr8_vgpr9_vgpr10_vgpr11_vgpr12_vgpr13_vgpr14_vgpr15
.LBB22_62:
	v_mad_u64_u32 v[8:9], s[0:1], s42, v27, 0
	v_mad_u64_u32 v[9:10], s[0:1], s43, v27, v[9:10]
	v_lshlrev_b64 v[8:9], 4, v[8:9]
	v_add_co_u32_e32 v8, vcc, v24, v8
	v_addc_co_u32_e32 v9, vcc, v26, v9, vcc
	global_load_dwordx4 v[8:11], v[8:9], off offset:1024
	s_waitcnt vmcnt(0)
	v_cmp_neq_f64_e32 vcc, 0, v[8:9]
	v_cmp_neq_f64_e64 s[0:1], 0, v[10:11]
	s_or_b64 s[0:1], vcc, s[0:1]
	v_cndmask_b32_e64 v8, 0, 1, s[0:1]
	v_add_co_u32_e32 v2, vcc, v2, v8
	v_addc_co_u32_e32 v3, vcc, 0, v3, vcc
	v_mov_b32_e32 v15, v7
	v_mov_b32_e32 v14, v6
	v_mov_b32_e32 v13, v5
	v_mov_b32_e32 v12, v4
	v_mov_b32_e32 v11, v3
	v_mov_b32_e32 v10, v2
	v_mov_b32_e32 v9, v1
	v_mov_b32_e32 v8, v0
.LBB22_63:
	v_mov_b32_e32 v0, v8
	v_mov_b32_e32 v1, v9
	v_mov_b32_e32 v2, v10
	v_mov_b32_e32 v3, v11
	v_mov_b32_e32 v4, v12
	v_mov_b32_e32 v5, v13
	v_mov_b32_e32 v6, v14
	v_mov_b32_e32 v7, v15
.LBB22_64:
	s_or_b64 exec, exec, s[8:9]
	v_or_b32_e32 v27, 2, v16
	v_cmp_gt_i32_e32 vcc, s38, v27
	s_and_saveexec_b64 s[8:9], vcc
	s_cbranch_execz .LBB22_70
; %bb.65:
	s_andn2_b64 vcc, exec, s[2:3]
	s_cbranch_vccnz .LBB22_67
; %bb.66:
	global_load_dwordx4 v[8:11], v[20:21], off offset:32
	s_waitcnt vmcnt(0)
	v_cmp_neq_f64_e32 vcc, 0, v[8:9]
	v_cmp_neq_f64_e64 s[0:1], 0, v[10:11]
	v_mov_b32_e32 v15, v7
	v_mov_b32_e32 v10, v2
	v_mov_b32_e32 v11, v3
	v_mov_b32_e32 v14, v6
	v_mov_b32_e32 v13, v5
	v_mov_b32_e32 v12, v4
	v_mov_b32_e32 v9, v1
	s_or_b64 s[0:1], vcc, s[0:1]
	v_cndmask_b32_e64 v10, 0, 1, s[0:1]
	v_add_co_u32_e32 v10, vcc, v2, v10
	v_mov_b32_e32 v8, v0
	v_addc_co_u32_e32 v11, vcc, 0, v3, vcc
	s_cbranch_execz .LBB22_68
	s_branch .LBB22_69
.LBB22_67:
                                        ; implicit-def: $vgpr8_vgpr9_vgpr10_vgpr11_vgpr12_vgpr13_vgpr14_vgpr15
.LBB22_68:
	v_mad_u64_u32 v[8:9], s[0:1], s42, v27, 0
	v_mad_u64_u32 v[9:10], s[0:1], s43, v27, v[9:10]
	v_lshlrev_b64 v[8:9], 4, v[8:9]
	v_add_co_u32_e32 v8, vcc, v24, v8
	v_addc_co_u32_e32 v9, vcc, v26, v9, vcc
	global_load_dwordx4 v[8:11], v[8:9], off offset:1024
	s_waitcnt vmcnt(0)
	v_cmp_neq_f64_e32 vcc, 0, v[8:9]
	v_cmp_neq_f64_e64 s[0:1], 0, v[10:11]
	s_or_b64 s[0:1], vcc, s[0:1]
	v_cndmask_b32_e64 v8, 0, 1, s[0:1]
	v_add_co_u32_e32 v2, vcc, v2, v8
	v_addc_co_u32_e32 v3, vcc, 0, v3, vcc
	v_mov_b32_e32 v15, v7
	v_mov_b32_e32 v14, v6
	v_mov_b32_e32 v13, v5
	v_mov_b32_e32 v12, v4
	v_mov_b32_e32 v11, v3
	v_mov_b32_e32 v10, v2
	v_mov_b32_e32 v9, v1
	v_mov_b32_e32 v8, v0
.LBB22_69:
	v_mov_b32_e32 v0, v8
	v_mov_b32_e32 v1, v9
	v_mov_b32_e32 v2, v10
	v_mov_b32_e32 v3, v11
	v_mov_b32_e32 v4, v12
	v_mov_b32_e32 v5, v13
	v_mov_b32_e32 v6, v14
	v_mov_b32_e32 v7, v15
.LBB22_70:
	;; [unrolled: 61-line block ×3, first 2 shown]
	s_or_b64 exec, exec, s[8:9]
.LBB22_77:
	s_or_b64 exec, exec, s[6:7]
	v_or_b32_e32 v8, 0x80, v18
	v_cmp_gt_i32_e32 vcc, s37, v8
	s_and_saveexec_b64 s[6:7], vcc
	s_cbranch_execz .LBB22_101
; %bb.78:
	v_ashrrev_i32_e32 v10, 31, v8
	v_mul_lo_u32 v11, s43, v8
	v_mad_u64_u32 v[8:9], s[0:1], s42, v8, 0
	v_mul_lo_u32 v10, s42, v10
	v_add3_u32 v9, v9, v10, v11
	v_lshlrev_b64 v[8:9], 4, v[8:9]
	v_mov_b32_e32 v10, s41
	v_add_co_u32_e32 v20, vcc, v17, v8
	v_addc_co_u32_e32 v21, vcc, v25, v9, vcc
	v_lshlrev_b64 v[8:9], 4, v[18:19]
	v_add_co_u32_e32 v24, vcc, s40, v8
	v_addc_co_u32_e32 v26, vcc, v10, v9, vcc
	v_cmp_gt_i32_e32 vcc, s38, v16
	s_and_saveexec_b64 s[8:9], vcc
	s_cbranch_execz .LBB22_82
; %bb.79:
	v_mov_b32_e32 v8, v20
	s_andn2_b64 vcc, exec, s[4:5]
	v_mov_b32_e32 v9, v21
	s_cbranch_vccnz .LBB22_81
; %bb.80:
	v_mad_u64_u32 v[8:9], s[0:1], s42, v16, 0
	v_mad_u64_u32 v[9:10], s[0:1], s43, v16, v[9:10]
	v_lshlrev_b64 v[8:9], 4, v[8:9]
	v_add_co_u32_e32 v8, vcc, v24, v8
	v_addc_co_u32_e32 v9, vcc, v26, v9, vcc
	v_add_co_u32_e32 v8, vcc, 0x800, v8
	v_addc_co_u32_e32 v9, vcc, 0, v9, vcc
.LBB22_81:
	global_load_dwordx4 v[8:11], v[8:9], off
	s_waitcnt vmcnt(0)
	v_cmp_neq_f64_e32 vcc, 0, v[8:9]
	v_cmp_neq_f64_e64 s[0:1], 0, v[10:11]
	s_or_b64 s[0:1], vcc, s[0:1]
	v_cndmask_b32_e64 v8, 0, 1, s[0:1]
	v_add_co_u32_e32 v4, vcc, v4, v8
	v_addc_co_u32_e32 v5, vcc, 0, v5, vcc
.LBB22_82:
	s_or_b64 exec, exec, s[8:9]
	v_or_b32_e32 v27, 1, v16
	v_cmp_gt_i32_e32 vcc, s38, v27
	s_and_saveexec_b64 s[8:9], vcc
	s_cbranch_execz .LBB22_88
; %bb.83:
	s_andn2_b64 vcc, exec, s[2:3]
	s_cbranch_vccnz .LBB22_85
; %bb.84:
	global_load_dwordx4 v[8:11], v[20:21], off offset:16
	s_waitcnt vmcnt(0)
	v_cmp_neq_f64_e32 vcc, 0, v[8:9]
	v_cmp_neq_f64_e64 s[0:1], 0, v[10:11]
	v_mov_b32_e32 v15, v7
	v_mov_b32_e32 v12, v4
	v_mov_b32_e32 v13, v5
	v_mov_b32_e32 v14, v6
	v_mov_b32_e32 v11, v3
	v_mov_b32_e32 v10, v2
	v_mov_b32_e32 v9, v1
	s_or_b64 s[0:1], vcc, s[0:1]
	v_cndmask_b32_e64 v12, 0, 1, s[0:1]
	v_add_co_u32_e32 v12, vcc, v4, v12
	v_mov_b32_e32 v8, v0
	v_addc_co_u32_e32 v13, vcc, 0, v5, vcc
	s_cbranch_execz .LBB22_86
	s_branch .LBB22_87
.LBB22_85:
                                        ; implicit-def: $vgpr8_vgpr9_vgpr10_vgpr11_vgpr12_vgpr13_vgpr14_vgpr15
.LBB22_86:
	v_mad_u64_u32 v[8:9], s[0:1], s42, v27, 0
	v_mad_u64_u32 v[9:10], s[0:1], s43, v27, v[9:10]
	v_lshlrev_b64 v[8:9], 4, v[8:9]
	v_add_co_u32_e32 v8, vcc, v24, v8
	v_addc_co_u32_e32 v9, vcc, v26, v9, vcc
	global_load_dwordx4 v[8:11], v[8:9], off offset:2048
	s_waitcnt vmcnt(0)
	v_cmp_neq_f64_e32 vcc, 0, v[8:9]
	v_cmp_neq_f64_e64 s[0:1], 0, v[10:11]
	s_or_b64 s[0:1], vcc, s[0:1]
	v_cndmask_b32_e64 v8, 0, 1, s[0:1]
	v_add_co_u32_e32 v4, vcc, v4, v8
	v_addc_co_u32_e32 v5, vcc, 0, v5, vcc
	v_mov_b32_e32 v15, v7
	v_mov_b32_e32 v14, v6
	v_mov_b32_e32 v13, v5
	v_mov_b32_e32 v12, v4
	v_mov_b32_e32 v11, v3
	v_mov_b32_e32 v10, v2
	v_mov_b32_e32 v9, v1
	v_mov_b32_e32 v8, v0
.LBB22_87:
	v_mov_b32_e32 v0, v8
	v_mov_b32_e32 v1, v9
	v_mov_b32_e32 v2, v10
	v_mov_b32_e32 v3, v11
	v_mov_b32_e32 v4, v12
	v_mov_b32_e32 v5, v13
	v_mov_b32_e32 v6, v14
	v_mov_b32_e32 v7, v15
.LBB22_88:
	s_or_b64 exec, exec, s[8:9]
	v_or_b32_e32 v27, 2, v16
	v_cmp_gt_i32_e32 vcc, s38, v27
	s_and_saveexec_b64 s[8:9], vcc
	s_cbranch_execz .LBB22_94
; %bb.89:
	s_andn2_b64 vcc, exec, s[2:3]
	s_cbranch_vccnz .LBB22_91
; %bb.90:
	global_load_dwordx4 v[8:11], v[20:21], off offset:32
	s_waitcnt vmcnt(0)
	v_cmp_neq_f64_e32 vcc, 0, v[8:9]
	v_cmp_neq_f64_e64 s[0:1], 0, v[10:11]
	v_mov_b32_e32 v15, v7
	v_mov_b32_e32 v12, v4
	v_mov_b32_e32 v13, v5
	v_mov_b32_e32 v14, v6
	v_mov_b32_e32 v11, v3
	v_mov_b32_e32 v10, v2
	v_mov_b32_e32 v9, v1
	s_or_b64 s[0:1], vcc, s[0:1]
	v_cndmask_b32_e64 v12, 0, 1, s[0:1]
	v_add_co_u32_e32 v12, vcc, v4, v12
	v_mov_b32_e32 v8, v0
	v_addc_co_u32_e32 v13, vcc, 0, v5, vcc
	s_cbranch_execz .LBB22_92
	s_branch .LBB22_93
.LBB22_91:
                                        ; implicit-def: $vgpr8_vgpr9_vgpr10_vgpr11_vgpr12_vgpr13_vgpr14_vgpr15
.LBB22_92:
	v_mad_u64_u32 v[8:9], s[0:1], s42, v27, 0
	v_mad_u64_u32 v[9:10], s[0:1], s43, v27, v[9:10]
	v_lshlrev_b64 v[8:9], 4, v[8:9]
	v_add_co_u32_e32 v8, vcc, v24, v8
	v_addc_co_u32_e32 v9, vcc, v26, v9, vcc
	global_load_dwordx4 v[8:11], v[8:9], off offset:2048
	s_waitcnt vmcnt(0)
	v_cmp_neq_f64_e32 vcc, 0, v[8:9]
	v_cmp_neq_f64_e64 s[0:1], 0, v[10:11]
	s_or_b64 s[0:1], vcc, s[0:1]
	v_cndmask_b32_e64 v8, 0, 1, s[0:1]
	v_add_co_u32_e32 v4, vcc, v4, v8
	v_addc_co_u32_e32 v5, vcc, 0, v5, vcc
	v_mov_b32_e32 v15, v7
	v_mov_b32_e32 v14, v6
	v_mov_b32_e32 v13, v5
	v_mov_b32_e32 v12, v4
	v_mov_b32_e32 v11, v3
	v_mov_b32_e32 v10, v2
	v_mov_b32_e32 v9, v1
	v_mov_b32_e32 v8, v0
.LBB22_93:
	v_mov_b32_e32 v0, v8
	v_mov_b32_e32 v1, v9
	v_mov_b32_e32 v2, v10
	v_mov_b32_e32 v3, v11
	v_mov_b32_e32 v4, v12
	v_mov_b32_e32 v5, v13
	v_mov_b32_e32 v6, v14
	v_mov_b32_e32 v7, v15
.LBB22_94:
	;; [unrolled: 61-line block ×3, first 2 shown]
	s_or_b64 exec, exec, s[8:9]
.LBB22_101:
	s_or_b64 exec, exec, s[6:7]
	v_or_b32_e32 v8, 0xc0, v18
	v_cmp_gt_i32_e32 vcc, s37, v8
	s_and_saveexec_b64 s[6:7], vcc
	s_cbranch_execz .LBB22_125
; %bb.102:
	v_ashrrev_i32_e32 v10, 31, v8
	v_mul_lo_u32 v11, s43, v8
	v_mad_u64_u32 v[8:9], s[0:1], s42, v8, 0
	v_mul_lo_u32 v10, s42, v10
	v_add3_u32 v9, v9, v10, v11
	v_lshlrev_b64 v[8:9], 4, v[8:9]
	v_mov_b32_e32 v10, s41
	v_add_co_u32_e32 v20, vcc, v17, v8
	v_addc_co_u32_e32 v21, vcc, v25, v9, vcc
	v_lshlrev_b64 v[8:9], 4, v[18:19]
	v_add_co_u32_e32 v17, vcc, s40, v8
	v_addc_co_u32_e32 v18, vcc, v10, v9, vcc
	v_cmp_gt_i32_e32 vcc, s38, v16
	s_and_saveexec_b64 s[8:9], vcc
	s_cbranch_execz .LBB22_106
; %bb.103:
	v_mov_b32_e32 v8, v20
	s_andn2_b64 vcc, exec, s[4:5]
	v_mov_b32_e32 v9, v21
	s_cbranch_vccnz .LBB22_105
; %bb.104:
	v_mad_u64_u32 v[8:9], s[0:1], s42, v16, 0
	v_mad_u64_u32 v[9:10], s[0:1], s43, v16, v[9:10]
	v_lshlrev_b64 v[8:9], 4, v[8:9]
	v_add_co_u32_e32 v8, vcc, v17, v8
	v_addc_co_u32_e32 v9, vcc, v18, v9, vcc
	v_add_co_u32_e32 v8, vcc, 0xc00, v8
	v_addc_co_u32_e32 v9, vcc, 0, v9, vcc
.LBB22_105:
	global_load_dwordx4 v[8:11], v[8:9], off
	s_waitcnt vmcnt(0)
	v_cmp_neq_f64_e32 vcc, 0, v[8:9]
	v_cmp_neq_f64_e64 s[0:1], 0, v[10:11]
	s_or_b64 s[0:1], vcc, s[0:1]
	v_cndmask_b32_e64 v8, 0, 1, s[0:1]
	v_add_co_u32_e32 v6, vcc, v6, v8
	v_addc_co_u32_e32 v7, vcc, 0, v7, vcc
.LBB22_106:
	s_or_b64 exec, exec, s[8:9]
	v_or_b32_e32 v19, 1, v16
	v_cndmask_b32_e64 v8, 0, 1, s[2:3]
	v_cmp_gt_i32_e32 vcc, s38, v19
	v_cmp_ne_u32_e64 s[0:1], 1, v8
	s_and_saveexec_b64 s[4:5], vcc
	s_cbranch_execz .LBB22_112
; %bb.107:
	s_and_b64 vcc, exec, s[0:1]
	s_cbranch_vccnz .LBB22_109
; %bb.108:
	global_load_dwordx4 v[8:11], v[20:21], off offset:16
	s_waitcnt vmcnt(0)
	v_cmp_neq_f64_e32 vcc, 0, v[8:9]
	v_cmp_neq_f64_e64 s[2:3], 0, v[10:11]
	v_mov_b32_e32 v15, v7
	v_mov_b32_e32 v14, v6
	;; [unrolled: 1-line block ×7, first 2 shown]
	s_or_b64 s[2:3], vcc, s[2:3]
	v_cndmask_b32_e64 v14, 0, 1, s[2:3]
	v_add_co_u32_e32 v14, vcc, v6, v14
	v_mov_b32_e32 v8, v0
	v_addc_co_u32_e32 v15, vcc, 0, v7, vcc
	s_cbranch_execz .LBB22_110
	s_branch .LBB22_111
.LBB22_109:
                                        ; implicit-def: $vgpr8_vgpr9_vgpr10_vgpr11_vgpr12_vgpr13_vgpr14_vgpr15
.LBB22_110:
	v_mad_u64_u32 v[8:9], s[2:3], s42, v19, 0
	v_mad_u64_u32 v[9:10], s[2:3], s43, v19, v[9:10]
	v_lshlrev_b64 v[8:9], 4, v[8:9]
	v_add_co_u32_e32 v8, vcc, v17, v8
	v_addc_co_u32_e32 v9, vcc, v18, v9, vcc
	global_load_dwordx4 v[8:11], v[8:9], off offset:3072
	s_waitcnt vmcnt(0)
	v_cmp_neq_f64_e32 vcc, 0, v[8:9]
	v_cmp_neq_f64_e64 s[2:3], 0, v[10:11]
	s_or_b64 s[2:3], vcc, s[2:3]
	v_cndmask_b32_e64 v8, 0, 1, s[2:3]
	v_add_co_u32_e32 v6, vcc, v6, v8
	v_addc_co_u32_e32 v7, vcc, 0, v7, vcc
	v_mov_b32_e32 v15, v7
	v_mov_b32_e32 v14, v6
	;; [unrolled: 1-line block ×8, first 2 shown]
.LBB22_111:
	v_mov_b32_e32 v0, v8
	v_mov_b32_e32 v1, v9
	;; [unrolled: 1-line block ×8, first 2 shown]
.LBB22_112:
	s_or_b64 exec, exec, s[4:5]
	v_or_b32_e32 v19, 2, v16
	v_cmp_gt_i32_e32 vcc, s38, v19
	s_and_saveexec_b64 s[4:5], vcc
	s_cbranch_execz .LBB22_118
; %bb.113:
	s_and_b64 vcc, exec, s[0:1]
	s_cbranch_vccnz .LBB22_115
; %bb.114:
	global_load_dwordx4 v[8:11], v[20:21], off offset:32
	s_waitcnt vmcnt(0)
	v_cmp_neq_f64_e32 vcc, 0, v[8:9]
	v_cmp_neq_f64_e64 s[2:3], 0, v[10:11]
	v_mov_b32_e32 v15, v7
	v_mov_b32_e32 v14, v6
	;; [unrolled: 1-line block ×7, first 2 shown]
	s_or_b64 s[2:3], vcc, s[2:3]
	v_cndmask_b32_e64 v14, 0, 1, s[2:3]
	v_add_co_u32_e32 v14, vcc, v6, v14
	v_mov_b32_e32 v8, v0
	v_addc_co_u32_e32 v15, vcc, 0, v7, vcc
	s_cbranch_execz .LBB22_116
	s_branch .LBB22_117
.LBB22_115:
                                        ; implicit-def: $vgpr8_vgpr9_vgpr10_vgpr11_vgpr12_vgpr13_vgpr14_vgpr15
.LBB22_116:
	v_mad_u64_u32 v[8:9], s[2:3], s42, v19, 0
	v_mad_u64_u32 v[9:10], s[2:3], s43, v19, v[9:10]
	v_lshlrev_b64 v[8:9], 4, v[8:9]
	v_add_co_u32_e32 v8, vcc, v17, v8
	v_addc_co_u32_e32 v9, vcc, v18, v9, vcc
	global_load_dwordx4 v[8:11], v[8:9], off offset:3072
	s_waitcnt vmcnt(0)
	v_cmp_neq_f64_e32 vcc, 0, v[8:9]
	v_cmp_neq_f64_e64 s[2:3], 0, v[10:11]
	s_or_b64 s[2:3], vcc, s[2:3]
	v_cndmask_b32_e64 v8, 0, 1, s[2:3]
	v_add_co_u32_e32 v6, vcc, v6, v8
	v_addc_co_u32_e32 v7, vcc, 0, v7, vcc
	v_mov_b32_e32 v15, v7
	v_mov_b32_e32 v14, v6
	;; [unrolled: 1-line block ×8, first 2 shown]
.LBB22_117:
	v_mov_b32_e32 v0, v8
	v_mov_b32_e32 v1, v9
	;; [unrolled: 1-line block ×8, first 2 shown]
.LBB22_118:
	s_or_b64 exec, exec, s[4:5]
	v_or_b32_e32 v16, 3, v16
	v_cmp_gt_i32_e32 vcc, s38, v16
	s_and_saveexec_b64 s[2:3], vcc
	s_cbranch_execz .LBB22_124
; %bb.119:
	s_and_b64 vcc, exec, s[0:1]
	s_cbranch_vccnz .LBB22_121
; %bb.120:
	global_load_dwordx4 v[8:11], v[20:21], off offset:48
	s_waitcnt vmcnt(0)
	v_cmp_neq_f64_e32 vcc, 0, v[8:9]
	v_cmp_neq_f64_e64 s[0:1], 0, v[10:11]
	v_mov_b32_e32 v15, v7
	v_mov_b32_e32 v14, v6
	;; [unrolled: 1-line block ×7, first 2 shown]
	s_or_b64 s[0:1], vcc, s[0:1]
	v_cndmask_b32_e64 v14, 0, 1, s[0:1]
	v_add_co_u32_e32 v14, vcc, v6, v14
	v_mov_b32_e32 v8, v0
	v_addc_co_u32_e32 v15, vcc, 0, v7, vcc
	s_cbranch_execz .LBB22_122
	s_branch .LBB22_123
.LBB22_121:
                                        ; implicit-def: $vgpr8_vgpr9_vgpr10_vgpr11_vgpr12_vgpr13_vgpr14_vgpr15
.LBB22_122:
	v_mad_u64_u32 v[8:9], s[0:1], s42, v16, 0
	v_mad_u64_u32 v[9:10], s[0:1], s43, v16, v[9:10]
	v_lshlrev_b64 v[8:9], 4, v[8:9]
	v_add_co_u32_e32 v8, vcc, v17, v8
	v_addc_co_u32_e32 v9, vcc, v18, v9, vcc
	global_load_dwordx4 v[8:11], v[8:9], off offset:3072
	s_waitcnt vmcnt(0)
	v_cmp_neq_f64_e32 vcc, 0, v[8:9]
	v_cmp_neq_f64_e64 s[0:1], 0, v[10:11]
	s_or_b64 s[0:1], vcc, s[0:1]
	v_cndmask_b32_e64 v8, 0, 1, s[0:1]
	v_add_co_u32_e32 v6, vcc, v6, v8
	v_addc_co_u32_e32 v7, vcc, 0, v7, vcc
	v_mov_b32_e32 v15, v7
	v_mov_b32_e32 v14, v6
	;; [unrolled: 1-line block ×8, first 2 shown]
.LBB22_123:
	v_mov_b32_e32 v0, v8
	v_mov_b32_e32 v1, v9
	;; [unrolled: 1-line block ×8, first 2 shown]
.LBB22_124:
	s_or_b64 exec, exec, s[2:3]
.LBB22_125:
	s_or_b64 exec, exec, s[6:7]
.LBB22_126:
	v_lshlrev_b32_e32 v8, 5, v22
	v_lshlrev_b32_e32 v9, 3, v23
	s_movk_i32 s0, 0xf800
	v_and_or_b32 v8, v8, s0, v9
	s_movk_i32 s0, 0x100
	v_cmp_gt_u32_e32 vcc, s0, v22
	ds_write2st64_b64 v8, v[0:1], v[2:3] offset1:1
	ds_write2st64_b64 v8, v[4:5], v[6:7] offset0:2 offset1:3
	s_waitcnt lgkmcnt(0)
	s_barrier
	s_and_saveexec_b64 s[0:1], vcc
	s_cbranch_execz .LBB22_129
; %bb.127:
	v_lshlrev_b32_e32 v9, 3, v22
	ds_read2st64_b64 v[1:4], v9 offset1:4
	ds_read2st64_b64 v[5:8], v9 offset0:8 offset1:12
	v_add_u32_e32 v0, s33, v22
	s_waitcnt lgkmcnt(1)
	v_add_co_u32_e32 v1, vcc, v1, v3
	v_addc_co_u32_e32 v2, vcc, v2, v4, vcc
	s_waitcnt lgkmcnt(0)
	v_add_co_u32_e32 v5, vcc, v1, v5
	v_addc_co_u32_e32 v6, vcc, v2, v6, vcc
	ds_read2st64_b64 v[1:4], v9 offset0:16 offset1:20
	v_add_co_u32_e32 v5, vcc, v5, v7
	v_addc_co_u32_e32 v6, vcc, v6, v8, vcc
	s_waitcnt lgkmcnt(0)
	v_add_co_u32_e32 v1, vcc, v5, v1
	v_addc_co_u32_e32 v2, vcc, v6, v2, vcc
	ds_read2st64_b64 v[5:8], v9 offset0:24 offset1:28
	;; [unrolled: 6-line block ×6, first 2 shown]
	v_add_co_u32_e32 v1, vcc, v1, v3
	v_addc_co_u32_e32 v2, vcc, v2, v4, vcc
	s_waitcnt lgkmcnt(0)
	v_add_co_u32_e32 v1, vcc, v1, v5
	v_addc_co_u32_e32 v3, vcc, v2, v6, vcc
	v_add_co_u32_e32 v2, vcc, v1, v7
	v_addc_co_u32_e32 v3, vcc, v3, v8, vcc
	v_cmp_gt_i32_e32 vcc, s37, v0
	ds_write_b64 v9, v[2:3]
	s_and_b64 exec, exec, vcc
	s_cbranch_execz .LBB22_129
; %bb.128:
	v_ashrrev_i32_e32 v1, 31, v0
	v_lshlrev_b64 v[0:1], 3, v[0:1]
	v_mov_b32_e32 v4, s27
	v_add_co_u32_e32 v0, vcc, s26, v0
	v_addc_co_u32_e32 v1, vcc, v4, v1, vcc
	global_store_dwordx2 v[0:1], v[2:3], off
.LBB22_129:
	s_endpgm
	.section	.rodata,"a",@progbits
	.p2align	6, 0x0
	.amdhsa_kernel _ZN9rocsparseL14nnz_kernel_rowILi64ELi16Eli21rocsparse_complex_numIdEEEv16rocsparse_order_T2_S4_PKT3_lPT1_
		.amdhsa_group_segment_fixed_size 32768
		.amdhsa_private_segment_fixed_size 0
		.amdhsa_kernarg_size 296
		.amdhsa_user_sgpr_count 6
		.amdhsa_user_sgpr_private_segment_buffer 1
		.amdhsa_user_sgpr_dispatch_ptr 0
		.amdhsa_user_sgpr_queue_ptr 0
		.amdhsa_user_sgpr_kernarg_segment_ptr 1
		.amdhsa_user_sgpr_dispatch_id 0
		.amdhsa_user_sgpr_flat_scratch_init 0
		.amdhsa_user_sgpr_private_segment_size 0
		.amdhsa_uses_dynamic_stack 0
		.amdhsa_system_sgpr_private_segment_wavefront_offset 0
		.amdhsa_system_sgpr_workgroup_id_x 1
		.amdhsa_system_sgpr_workgroup_id_y 0
		.amdhsa_system_sgpr_workgroup_id_z 0
		.amdhsa_system_sgpr_workgroup_info 0
		.amdhsa_system_vgpr_workitem_id 1
		.amdhsa_next_free_vgpr 46
		.amdhsa_next_free_sgpr 61
		.amdhsa_reserve_vcc 1
		.amdhsa_reserve_flat_scratch 0
		.amdhsa_float_round_mode_32 0
		.amdhsa_float_round_mode_16_64 0
		.amdhsa_float_denorm_mode_32 3
		.amdhsa_float_denorm_mode_16_64 3
		.amdhsa_dx10_clamp 1
		.amdhsa_ieee_mode 1
		.amdhsa_fp16_overflow 0
		.amdhsa_exception_fp_ieee_invalid_op 0
		.amdhsa_exception_fp_denorm_src 0
		.amdhsa_exception_fp_ieee_div_zero 0
		.amdhsa_exception_fp_ieee_overflow 0
		.amdhsa_exception_fp_ieee_underflow 0
		.amdhsa_exception_fp_ieee_inexact 0
		.amdhsa_exception_int_div_zero 0
	.end_amdhsa_kernel
	.section	.text._ZN9rocsparseL14nnz_kernel_rowILi64ELi16Eli21rocsparse_complex_numIdEEEv16rocsparse_order_T2_S4_PKT3_lPT1_,"axG",@progbits,_ZN9rocsparseL14nnz_kernel_rowILi64ELi16Eli21rocsparse_complex_numIdEEEv16rocsparse_order_T2_S4_PKT3_lPT1_,comdat
.Lfunc_end22:
	.size	_ZN9rocsparseL14nnz_kernel_rowILi64ELi16Eli21rocsparse_complex_numIdEEEv16rocsparse_order_T2_S4_PKT3_lPT1_, .Lfunc_end22-_ZN9rocsparseL14nnz_kernel_rowILi64ELi16Eli21rocsparse_complex_numIdEEEv16rocsparse_order_T2_S4_PKT3_lPT1_
                                        ; -- End function
	.set _ZN9rocsparseL14nnz_kernel_rowILi64ELi16Eli21rocsparse_complex_numIdEEEv16rocsparse_order_T2_S4_PKT3_lPT1_.num_vgpr, 46
	.set _ZN9rocsparseL14nnz_kernel_rowILi64ELi16Eli21rocsparse_complex_numIdEEEv16rocsparse_order_T2_S4_PKT3_lPT1_.num_agpr, 0
	.set _ZN9rocsparseL14nnz_kernel_rowILi64ELi16Eli21rocsparse_complex_numIdEEEv16rocsparse_order_T2_S4_PKT3_lPT1_.numbered_sgpr, 48
	.set _ZN9rocsparseL14nnz_kernel_rowILi64ELi16Eli21rocsparse_complex_numIdEEEv16rocsparse_order_T2_S4_PKT3_lPT1_.num_named_barrier, 0
	.set _ZN9rocsparseL14nnz_kernel_rowILi64ELi16Eli21rocsparse_complex_numIdEEEv16rocsparse_order_T2_S4_PKT3_lPT1_.private_seg_size, 0
	.set _ZN9rocsparseL14nnz_kernel_rowILi64ELi16Eli21rocsparse_complex_numIdEEEv16rocsparse_order_T2_S4_PKT3_lPT1_.uses_vcc, 1
	.set _ZN9rocsparseL14nnz_kernel_rowILi64ELi16Eli21rocsparse_complex_numIdEEEv16rocsparse_order_T2_S4_PKT3_lPT1_.uses_flat_scratch, 0
	.set _ZN9rocsparseL14nnz_kernel_rowILi64ELi16Eli21rocsparse_complex_numIdEEEv16rocsparse_order_T2_S4_PKT3_lPT1_.has_dyn_sized_stack, 0
	.set _ZN9rocsparseL14nnz_kernel_rowILi64ELi16Eli21rocsparse_complex_numIdEEEv16rocsparse_order_T2_S4_PKT3_lPT1_.has_recursion, 0
	.set _ZN9rocsparseL14nnz_kernel_rowILi64ELi16Eli21rocsparse_complex_numIdEEEv16rocsparse_order_T2_S4_PKT3_lPT1_.has_indirect_call, 0
	.section	.AMDGPU.csdata,"",@progbits
; Kernel info:
; codeLenInByte = 7452
; TotalNumSgprs: 52
; NumVgprs: 46
; ScratchSize: 0
; MemoryBound: 0
; FloatMode: 240
; IeeeMode: 1
; LDSByteSize: 32768 bytes/workgroup (compile time only)
; SGPRBlocks: 8
; VGPRBlocks: 11
; NumSGPRsForWavesPerEU: 65
; NumVGPRsForWavesPerEU: 46
; Occupancy: 5
; WaveLimiterHint : 0
; COMPUTE_PGM_RSRC2:SCRATCH_EN: 0
; COMPUTE_PGM_RSRC2:USER_SGPR: 6
; COMPUTE_PGM_RSRC2:TRAP_HANDLER: 0
; COMPUTE_PGM_RSRC2:TGID_X_EN: 1
; COMPUTE_PGM_RSRC2:TGID_Y_EN: 0
; COMPUTE_PGM_RSRC2:TGID_Z_EN: 0
; COMPUTE_PGM_RSRC2:TIDIG_COMP_CNT: 1
	.section	.text._ZN9rocsparseL14nnz_kernel_colILi256Eli21rocsparse_complex_numIdEEEv16rocsparse_order_T1_S4_PKT2_lPT0_,"axG",@progbits,_ZN9rocsparseL14nnz_kernel_colILi256Eli21rocsparse_complex_numIdEEEv16rocsparse_order_T1_S4_PKT2_lPT0_,comdat
	.globl	_ZN9rocsparseL14nnz_kernel_colILi256Eli21rocsparse_complex_numIdEEEv16rocsparse_order_T1_S4_PKT2_lPT0_ ; -- Begin function _ZN9rocsparseL14nnz_kernel_colILi256Eli21rocsparse_complex_numIdEEEv16rocsparse_order_T1_S4_PKT2_lPT0_
	.p2align	8
	.type	_ZN9rocsparseL14nnz_kernel_colILi256Eli21rocsparse_complex_numIdEEEv16rocsparse_order_T1_S4_PKT2_lPT0_,@function
_ZN9rocsparseL14nnz_kernel_colILi256Eli21rocsparse_complex_numIdEEEv16rocsparse_order_T1_S4_PKT2_lPT0_: ; @_ZN9rocsparseL14nnz_kernel_colILi256Eli21rocsparse_complex_numIdEEEv16rocsparse_order_T1_S4_PKT2_lPT0_
; %bb.0:
	s_load_dwordx2 s[12:13], s[4:5], 0x0
	s_load_dwordx4 s[8:11], s[4:5], 0x10
	s_waitcnt lgkmcnt(0)
	s_ashr_i32 s0, s13, 31
	s_lshr_b32 s0, s0, 24
	s_add_i32 s0, s13, s0
	s_and_b32 s14, s0, 0xffffff00
	s_cmp_eq_u32 s12, 1
	s_cbranch_scc1 .LBB23_6
; %bb.1:
	v_mov_b32_e32 v1, 0
	v_mov_b32_e32 v2, 0
	s_cmpk_lt_i32 s13, 0x100
	s_cbranch_scc1 .LBB23_7
; %bb.2:
	v_mad_u64_u32 v[1:2], s[0:1], s10, v0, 0
	s_ashr_i32 s7, s6, 31
	v_mad_u64_u32 v[2:3], s[0:1], s11, v0, v[2:3]
	s_lshl_b64 s[0:1], s[6:7], 4
	s_add_u32 s0, s8, s0
	v_lshlrev_b64 v[1:2], 4, v[1:2]
	s_addc_u32 s1, s9, s1
	v_mov_b32_e32 v3, s1
	v_add_co_u32_e32 v1, vcc, s0, v1
	v_addc_co_u32_e32 v2, vcc, v3, v2, vcc
	v_add_co_u32_e32 v3, vcc, 8, v1
	v_addc_co_u32_e32 v4, vcc, 0, v2, vcc
	s_lshl_b64 s[2:3], s[10:11], 12
	v_mov_b32_e32 v1, 0
	v_mov_b32_e32 v2, 0
	s_mov_b32 s7, 0
	v_mov_b32_e32 v5, s3
	s_branch .LBB23_4
.LBB23_3:                               ;   in Loop: Header=BB23_4 Depth=1
	s_or_b64 exec, exec, s[16:17]
	s_addk_i32 s7, 0x100
	v_add_co_u32_e32 v3, vcc, s2, v3
	s_cmp_ge_i32 s7, s14
	v_addc_co_u32_e32 v4, vcc, v4, v5, vcc
	s_cbranch_scc1 .LBB23_7
.LBB23_4:                               ; =>This Inner Loop Header: Depth=1
	v_add_u32_e32 v6, s7, v0
	v_cmp_gt_i32_e32 vcc, s13, v6
	s_and_saveexec_b64 s[16:17], vcc
	s_cbranch_execz .LBB23_3
; %bb.5:                                ;   in Loop: Header=BB23_4 Depth=1
	global_load_dwordx4 v[6:9], v[3:4], off offset:-8
	s_waitcnt vmcnt(0)
	v_cmp_neq_f64_e32 vcc, 0, v[6:7]
	v_cmp_neq_f64_e64 s[0:1], 0, v[8:9]
	s_or_b64 s[0:1], vcc, s[0:1]
	v_cndmask_b32_e64 v6, 0, 1, s[0:1]
	v_add_co_u32_e32 v1, vcc, v1, v6
	v_addc_co_u32_e32 v2, vcc, 0, v2, vcc
	s_branch .LBB23_3
.LBB23_6:
	s_mov_b64 s[16:17], 0
                                        ; implicit-def: $vgpr1_vgpr2
                                        ; implicit-def: $vgpr3_vgpr4
	s_cbranch_execnz .LBB23_10
	s_branch .LBB23_16
.LBB23_7:
	v_add_u32_e32 v5, s14, v0
	v_cmp_gt_i32_e32 vcc, s13, v5
	s_mov_b64 s[0:1], 0
	s_mov_b64 s[16:17], 0
                                        ; implicit-def: $vgpr3_vgpr4
	s_and_saveexec_b64 s[2:3], vcc
	s_xor_b64 s[2:3], exec, s[2:3]
	s_cbranch_execz .LBB23_9
; %bb.8:
	v_ashrrev_i32_e32 v3, 31, v5
	v_mul_lo_u32 v6, s11, v5
	v_mul_lo_u32 v7, s10, v3
	v_mad_u64_u32 v[3:4], s[18:19], s10, v5, 0
	s_ashr_i32 s7, s6, 31
	v_mov_b32_e32 v5, s9
	v_add3_u32 v4, v4, v7, v6
	v_lshlrev_b64 v[3:4], 4, v[3:4]
	s_lshl_b64 s[18:19], s[6:7], 4
	v_add_co_u32_e32 v3, vcc, s8, v3
	v_addc_co_u32_e32 v4, vcc, v5, v4, vcc
	v_mov_b32_e32 v5, s19
	v_add_co_u32_e32 v3, vcc, s18, v3
	s_mov_b64 s[16:17], exec
	v_addc_co_u32_e32 v4, vcc, v4, v5, vcc
.LBB23_9:
	s_or_b64 exec, exec, s[2:3]
	s_and_b64 vcc, exec, s[0:1]
	s_cbranch_vccz .LBB23_16
.LBB23_10:
	s_ashr_i32 s0, s6, 31
	s_mul_hi_u32 s1, s10, s6
	s_mul_i32 s0, s10, s0
	s_add_i32 s0, s1, s0
	s_mul_i32 s1, s11, s6
	v_cmp_gt_i32_e32 vcc, s13, v0
	s_add_i32 s11, s0, s1
	v_cndmask_b32_e32 v3, 0, v0, vcc
	v_mov_b32_e32 v1, 0
	s_mul_i32 s10, s10, s6
	s_mov_b32 s7, 0
	v_mov_b32_e32 v2, 0
	s_cmpk_lt_i32 s13, 0x100
	v_lshlrev_b32_e32 v5, 4, v3
	s_cbranch_scc1 .LBB23_13
; %bb.11:
	s_lshl_b64 s[0:1], s[10:11], 4
	s_add_u32 s0, s8, s0
	s_addc_u32 s1, s9, s1
	v_mov_b32_e32 v1, s1
	v_add_co_u32_e32 v3, vcc, s0, v5
	v_addc_co_u32_e32 v4, vcc, 0, v1, vcc
	v_mov_b32_e32 v1, 0
	v_add_co_u32_e32 v3, vcc, 8, v3
	v_mov_b32_e32 v2, 0
	v_addc_co_u32_e32 v4, vcc, 0, v4, vcc
.LBB23_12:                              ; =>This Inner Loop Header: Depth=1
	global_load_dwordx4 v[6:9], v[3:4], off offset:-8
	v_add_co_u32_e32 v3, vcc, 0x1000, v3
	v_addc_co_u32_e32 v4, vcc, 0, v4, vcc
	s_addk_i32 s7, 0x100
	s_waitcnt vmcnt(0)
	v_cmp_neq_f64_e64 s[0:1], 0, v[6:7]
	v_cmp_neq_f64_e64 s[2:3], 0, v[8:9]
	s_or_b64 s[0:1], s[0:1], s[2:3]
	v_cndmask_b32_e64 v6, 0, 1, s[0:1]
	v_add_co_u32_e32 v1, vcc, v1, v6
	s_cmp_ge_i32 s7, s14
	v_addc_co_u32_e32 v2, vcc, 0, v2, vcc
	s_cbranch_scc0 .LBB23_12
.LBB23_13:
	v_add_u32_e32 v3, s14, v0
	v_cmp_gt_i32_e32 vcc, s13, v3
                                        ; implicit-def: $vgpr3_vgpr4
	s_and_saveexec_b64 s[0:1], vcc
	s_cbranch_execz .LBB23_15
; %bb.14:
	s_lshl_b64 s[2:3], s[10:11], 4
	s_add_u32 s2, s8, s2
	s_addc_u32 s3, s9, s3
	v_mov_b32_e32 v3, s3
	v_add_co_u32_e32 v4, vcc, s2, v5
	s_ashr_i32 s15, s14, 31
	v_addc_co_u32_e32 v5, vcc, 0, v3, vcc
	s_lshl_b64 s[2:3], s[14:15], 4
	v_mov_b32_e32 v6, s3
	v_add_co_u32_e32 v3, vcc, s2, v4
	v_addc_co_u32_e32 v4, vcc, v5, v6, vcc
	s_or_b64 s[16:17], s[16:17], exec
.LBB23_15:
	s_or_b64 exec, exec, s[0:1]
.LBB23_16:
	s_and_saveexec_b64 s[2:3], s[16:17]
	s_cbranch_execz .LBB23_18
; %bb.17:
	global_load_dwordx4 v[3:6], v[3:4], off
	s_waitcnt vmcnt(0)
	v_cmp_neq_f64_e32 vcc, 0, v[3:4]
	v_cmp_neq_f64_e64 s[0:1], 0, v[5:6]
	s_or_b64 s[0:1], vcc, s[0:1]
	v_cndmask_b32_e64 v3, 0, 1, s[0:1]
	v_add_co_u32_e32 v1, vcc, v1, v3
	v_addc_co_u32_e32 v2, vcc, 0, v2, vcc
.LBB23_18:
	s_or_b64 exec, exec, s[2:3]
	v_lshlrev_b32_e32 v3, 3, v0
	s_cmpk_lt_i32 s13, 0x100
	s_mov_b64 s[0:1], -1
	v_cmp_eq_u32_e32 vcc, 0, v0
	ds_write_b64 v3, v[1:2]
	s_waitcnt lgkmcnt(0)
	s_cbranch_scc1 .LBB23_22
; %bb.19:
	s_and_b64 vcc, exec, s[0:1]
	s_cbranch_vccnz .LBB23_32
.LBB23_20:
	v_cmp_eq_u32_e32 vcc, 0, v0
	s_and_saveexec_b64 s[0:1], vcc
	s_cbranch_execnz .LBB23_49
.LBB23_21:
	s_endpgm
.LBB23_22:
	s_cmp_gt_i32 s13, 1
	s_cselect_b64 s[0:1], -1, 0
	s_mov_b32 s3, 1
	s_and_b64 s[8:9], vcc, s[0:1]
	s_barrier
	s_and_saveexec_b64 s[0:1], s[8:9]
	s_cbranch_execz .LBB23_31
; %bb.23:
	v_mov_b32_e32 v1, 0
	ds_read_b64 v[1:2], v1
	s_add_i32 s2, s13, -1
	s_add_i32 s7, s13, -2
	s_cmp_lt_u32 s7, 7
	s_cbranch_scc1 .LBB23_27
; %bb.24:
	s_and_b32 s3, s2, -8
	s_mov_b32 s8, 0
	s_mov_b32 s7, 8
.LBB23_25:                              ; =>This Inner Loop Header: Depth=1
	v_mov_b32_e32 v16, s7
	ds_read2_b64 v[4:7], v16 offset1:1
	ds_read2_b64 v[8:11], v16 offset0:2 offset1:3
	ds_read2_b64 v[12:15], v16 offset0:4 offset1:5
	;; [unrolled: 1-line block ×3, first 2 shown]
	s_mov_b32 s9, s8
	s_waitcnt lgkmcnt(3)
	v_add_co_u32_e32 v1, vcc, v1, v4
	v_addc_co_u32_e32 v2, vcc, v2, v5, vcc
	v_add_co_u32_e32 v1, vcc, v1, v6
	v_addc_co_u32_e32 v2, vcc, v2, v7, vcc
	s_waitcnt lgkmcnt(2)
	v_add_co_u32_e32 v1, vcc, v1, v8
	v_addc_co_u32_e32 v2, vcc, v2, v9, vcc
	v_add_co_u32_e32 v1, vcc, v1, v10
	v_addc_co_u32_e32 v2, vcc, v2, v11, vcc
	;; [unrolled: 5-line block ×3, first 2 shown]
	s_waitcnt lgkmcnt(0)
	v_add_co_u32_e32 v1, vcc, v1, v16
	v_addc_co_u32_e32 v2, vcc, v2, v17, vcc
	s_add_i32 s7, s7, 64
	s_add_i32 s8, s8, 8
	v_add_co_u32_e32 v1, vcc, v1, v18
	s_cmp_lg_u32 s3, s8
	v_addc_co_u32_e32 v2, vcc, v2, v19, vcc
	s_cbranch_scc1 .LBB23_25
; %bb.26:
	s_add_i32 s3, s9, 9
.LBB23_27:
	s_and_b32 s2, s2, 7
	s_cmp_eq_u32 s2, 0
	s_cbranch_scc1 .LBB23_30
; %bb.28:
	s_lshl_b32 s3, s3, 3
.LBB23_29:                              ; =>This Inner Loop Header: Depth=1
	v_mov_b32_e32 v4, s3
	ds_read_b64 v[4:5], v4
	s_add_i32 s3, s3, 8
	s_add_i32 s2, s2, -1
	s_cmp_lg_u32 s2, 0
	s_waitcnt lgkmcnt(0)
	v_add_co_u32_e32 v1, vcc, v1, v4
	v_addc_co_u32_e32 v2, vcc, v2, v5, vcc
	s_cbranch_scc1 .LBB23_29
.LBB23_30:
	v_mov_b32_e32 v4, 0
	s_waitcnt lgkmcnt(0)
	ds_write_b64 v4, v[1:2]
.LBB23_31:
	s_or_b64 exec, exec, s[0:1]
	s_waitcnt lgkmcnt(0)
	s_barrier
	s_branch .LBB23_20
.LBB23_32:
	s_movk_i32 s0, 0x80
	v_cmp_gt_u32_e32 vcc, s0, v0
	s_barrier
	s_and_saveexec_b64 s[0:1], vcc
	s_cbranch_execz .LBB23_34
; %bb.33:
	ds_read2st64_b64 v[4:7], v3 offset1:2
	s_waitcnt lgkmcnt(0)
	v_add_co_u32_e32 v1, vcc, v4, v6
	v_addc_co_u32_e32 v2, vcc, v5, v7, vcc
	ds_write_b64 v3, v[1:2]
.LBB23_34:
	s_or_b64 exec, exec, s[0:1]
	v_cmp_gt_u32_e32 vcc, 64, v0
	s_waitcnt lgkmcnt(0)
	s_barrier
	s_and_saveexec_b64 s[0:1], vcc
	s_cbranch_execz .LBB23_36
; %bb.35:
	ds_read2st64_b64 v[4:7], v3 offset1:1
	s_waitcnt lgkmcnt(0)
	v_add_co_u32_e32 v1, vcc, v4, v6
	v_addc_co_u32_e32 v2, vcc, v5, v7, vcc
	ds_write_b64 v3, v[1:2]
.LBB23_36:
	s_or_b64 exec, exec, s[0:1]
	v_cmp_gt_u32_e32 vcc, 32, v0
	s_waitcnt lgkmcnt(0)
	s_barrier
	s_and_saveexec_b64 s[0:1], vcc
	s_cbranch_execz .LBB23_38
; %bb.37:
	ds_read2_b64 v[4:7], v3 offset1:32
	s_waitcnt lgkmcnt(0)
	v_add_co_u32_e32 v1, vcc, v4, v6
	v_addc_co_u32_e32 v2, vcc, v5, v7, vcc
	ds_write_b64 v3, v[1:2]
.LBB23_38:
	s_or_b64 exec, exec, s[0:1]
	v_cmp_gt_u32_e32 vcc, 16, v0
	s_waitcnt lgkmcnt(0)
	s_barrier
	s_and_saveexec_b64 s[0:1], vcc
	s_cbranch_execz .LBB23_40
; %bb.39:
	ds_read2_b64 v[4:7], v3 offset1:16
	s_waitcnt lgkmcnt(0)
	v_add_co_u32_e32 v1, vcc, v4, v6
	v_addc_co_u32_e32 v2, vcc, v5, v7, vcc
	ds_write_b64 v3, v[1:2]
.LBB23_40:
	s_or_b64 exec, exec, s[0:1]
	v_cmp_gt_u32_e32 vcc, 8, v0
	s_waitcnt lgkmcnt(0)
	s_barrier
	s_and_saveexec_b64 s[0:1], vcc
	s_cbranch_execz .LBB23_42
; %bb.41:
	ds_read2_b64 v[4:7], v3 offset1:8
	s_waitcnt lgkmcnt(0)
	v_add_co_u32_e32 v1, vcc, v4, v6
	v_addc_co_u32_e32 v2, vcc, v5, v7, vcc
	ds_write_b64 v3, v[1:2]
.LBB23_42:
	s_or_b64 exec, exec, s[0:1]
	v_cmp_gt_u32_e32 vcc, 4, v0
	s_waitcnt lgkmcnt(0)
	s_barrier
	s_and_saveexec_b64 s[0:1], vcc
	s_cbranch_execz .LBB23_44
; %bb.43:
	ds_read2_b64 v[4:7], v3 offset1:4
	s_waitcnt lgkmcnt(0)
	v_add_co_u32_e32 v1, vcc, v4, v6
	v_addc_co_u32_e32 v2, vcc, v5, v7, vcc
	ds_write_b64 v3, v[1:2]
.LBB23_44:
	s_or_b64 exec, exec, s[0:1]
	v_cmp_gt_u32_e32 vcc, 2, v0
	s_waitcnt lgkmcnt(0)
	s_barrier
	s_and_saveexec_b64 s[0:1], vcc
	s_cbranch_execz .LBB23_46
; %bb.45:
	ds_read2_b64 v[4:7], v3 offset1:2
	s_waitcnt lgkmcnt(0)
	v_add_co_u32_e32 v1, vcc, v4, v6
	v_addc_co_u32_e32 v2, vcc, v5, v7, vcc
	ds_write_b64 v3, v[1:2]
.LBB23_46:
	s_or_b64 exec, exec, s[0:1]
	v_cmp_eq_u32_e32 vcc, 0, v0
	s_waitcnt lgkmcnt(0)
	s_barrier
	s_and_saveexec_b64 s[0:1], vcc
	s_cbranch_execz .LBB23_48
; %bb.47:
	v_mov_b32_e32 v5, 0
	ds_read_b128 v[1:4], v5
	s_waitcnt lgkmcnt(0)
	v_add_co_u32_e32 v1, vcc, v1, v3
	v_addc_co_u32_e32 v2, vcc, v2, v4, vcc
	ds_write_b64 v5, v[1:2]
.LBB23_48:
	s_or_b64 exec, exec, s[0:1]
	s_waitcnt lgkmcnt(0)
	s_barrier
	v_cmp_eq_u32_e32 vcc, 0, v0
	s_and_saveexec_b64 s[0:1], vcc
	s_cbranch_execz .LBB23_21
.LBB23_49:
	s_load_dwordx2 s[0:1], s[4:5], 0x20
	v_mov_b32_e32 v2, 0
	ds_read_b64 v[0:1], v2
	s_ashr_i32 s7, s6, 31
	s_lshl_b64 s[2:3], s[6:7], 3
	s_waitcnt lgkmcnt(0)
	s_add_u32 s0, s0, s2
	s_addc_u32 s1, s1, s3
	global_store_dwordx2 v2, v[0:1], s[0:1]
	s_endpgm
	.section	.rodata,"a",@progbits
	.p2align	6, 0x0
	.amdhsa_kernel _ZN9rocsparseL14nnz_kernel_colILi256Eli21rocsparse_complex_numIdEEEv16rocsparse_order_T1_S4_PKT2_lPT0_
		.amdhsa_group_segment_fixed_size 2048
		.amdhsa_private_segment_fixed_size 0
		.amdhsa_kernarg_size 40
		.amdhsa_user_sgpr_count 6
		.amdhsa_user_sgpr_private_segment_buffer 1
		.amdhsa_user_sgpr_dispatch_ptr 0
		.amdhsa_user_sgpr_queue_ptr 0
		.amdhsa_user_sgpr_kernarg_segment_ptr 1
		.amdhsa_user_sgpr_dispatch_id 0
		.amdhsa_user_sgpr_flat_scratch_init 0
		.amdhsa_user_sgpr_private_segment_size 0
		.amdhsa_uses_dynamic_stack 0
		.amdhsa_system_sgpr_private_segment_wavefront_offset 0
		.amdhsa_system_sgpr_workgroup_id_x 1
		.amdhsa_system_sgpr_workgroup_id_y 0
		.amdhsa_system_sgpr_workgroup_id_z 0
		.amdhsa_system_sgpr_workgroup_info 0
		.amdhsa_system_vgpr_workitem_id 0
		.amdhsa_next_free_vgpr 20
		.amdhsa_next_free_sgpr 20
		.amdhsa_reserve_vcc 1
		.amdhsa_reserve_flat_scratch 0
		.amdhsa_float_round_mode_32 0
		.amdhsa_float_round_mode_16_64 0
		.amdhsa_float_denorm_mode_32 3
		.amdhsa_float_denorm_mode_16_64 3
		.amdhsa_dx10_clamp 1
		.amdhsa_ieee_mode 1
		.amdhsa_fp16_overflow 0
		.amdhsa_exception_fp_ieee_invalid_op 0
		.amdhsa_exception_fp_denorm_src 0
		.amdhsa_exception_fp_ieee_div_zero 0
		.amdhsa_exception_fp_ieee_overflow 0
		.amdhsa_exception_fp_ieee_underflow 0
		.amdhsa_exception_fp_ieee_inexact 0
		.amdhsa_exception_int_div_zero 0
	.end_amdhsa_kernel
	.section	.text._ZN9rocsparseL14nnz_kernel_colILi256Eli21rocsparse_complex_numIdEEEv16rocsparse_order_T1_S4_PKT2_lPT0_,"axG",@progbits,_ZN9rocsparseL14nnz_kernel_colILi256Eli21rocsparse_complex_numIdEEEv16rocsparse_order_T1_S4_PKT2_lPT0_,comdat
.Lfunc_end23:
	.size	_ZN9rocsparseL14nnz_kernel_colILi256Eli21rocsparse_complex_numIdEEEv16rocsparse_order_T1_S4_PKT2_lPT0_, .Lfunc_end23-_ZN9rocsparseL14nnz_kernel_colILi256Eli21rocsparse_complex_numIdEEEv16rocsparse_order_T1_S4_PKT2_lPT0_
                                        ; -- End function
	.set _ZN9rocsparseL14nnz_kernel_colILi256Eli21rocsparse_complex_numIdEEEv16rocsparse_order_T1_S4_PKT2_lPT0_.num_vgpr, 20
	.set _ZN9rocsparseL14nnz_kernel_colILi256Eli21rocsparse_complex_numIdEEEv16rocsparse_order_T1_S4_PKT2_lPT0_.num_agpr, 0
	.set _ZN9rocsparseL14nnz_kernel_colILi256Eli21rocsparse_complex_numIdEEEv16rocsparse_order_T1_S4_PKT2_lPT0_.numbered_sgpr, 20
	.set _ZN9rocsparseL14nnz_kernel_colILi256Eli21rocsparse_complex_numIdEEEv16rocsparse_order_T1_S4_PKT2_lPT0_.num_named_barrier, 0
	.set _ZN9rocsparseL14nnz_kernel_colILi256Eli21rocsparse_complex_numIdEEEv16rocsparse_order_T1_S4_PKT2_lPT0_.private_seg_size, 0
	.set _ZN9rocsparseL14nnz_kernel_colILi256Eli21rocsparse_complex_numIdEEEv16rocsparse_order_T1_S4_PKT2_lPT0_.uses_vcc, 1
	.set _ZN9rocsparseL14nnz_kernel_colILi256Eli21rocsparse_complex_numIdEEEv16rocsparse_order_T1_S4_PKT2_lPT0_.uses_flat_scratch, 0
	.set _ZN9rocsparseL14nnz_kernel_colILi256Eli21rocsparse_complex_numIdEEEv16rocsparse_order_T1_S4_PKT2_lPT0_.has_dyn_sized_stack, 0
	.set _ZN9rocsparseL14nnz_kernel_colILi256Eli21rocsparse_complex_numIdEEEv16rocsparse_order_T1_S4_PKT2_lPT0_.has_recursion, 0
	.set _ZN9rocsparseL14nnz_kernel_colILi256Eli21rocsparse_complex_numIdEEEv16rocsparse_order_T1_S4_PKT2_lPT0_.has_indirect_call, 0
	.section	.AMDGPU.csdata,"",@progbits
; Kernel info:
; codeLenInByte = 1508
; TotalNumSgprs: 24
; NumVgprs: 20
; ScratchSize: 0
; MemoryBound: 0
; FloatMode: 240
; IeeeMode: 1
; LDSByteSize: 2048 bytes/workgroup (compile time only)
; SGPRBlocks: 2
; VGPRBlocks: 4
; NumSGPRsForWavesPerEU: 24
; NumVGPRsForWavesPerEU: 20
; Occupancy: 10
; WaveLimiterHint : 0
; COMPUTE_PGM_RSRC2:SCRATCH_EN: 0
; COMPUTE_PGM_RSRC2:USER_SGPR: 6
; COMPUTE_PGM_RSRC2:TRAP_HANDLER: 0
; COMPUTE_PGM_RSRC2:TGID_X_EN: 1
; COMPUTE_PGM_RSRC2:TGID_Y_EN: 0
; COMPUTE_PGM_RSRC2:TGID_Z_EN: 0
; COMPUTE_PGM_RSRC2:TIDIG_COMP_CNT: 0
	.section	.text._ZN9rocsparseL14nnz_kernel_rowILi64ELi16Ell18rocsparse_bfloat16EEv16rocsparse_order_T2_S3_PKT3_lPT1_,"axG",@progbits,_ZN9rocsparseL14nnz_kernel_rowILi64ELi16Ell18rocsparse_bfloat16EEv16rocsparse_order_T2_S3_PKT3_lPT1_,comdat
	.globl	_ZN9rocsparseL14nnz_kernel_rowILi64ELi16Ell18rocsparse_bfloat16EEv16rocsparse_order_T2_S3_PKT3_lPT1_ ; -- Begin function _ZN9rocsparseL14nnz_kernel_rowILi64ELi16Ell18rocsparse_bfloat16EEv16rocsparse_order_T2_S3_PKT3_lPT1_
	.p2align	8
	.type	_ZN9rocsparseL14nnz_kernel_rowILi64ELi16Ell18rocsparse_bfloat16EEv16rocsparse_order_T2_S3_PKT3_lPT1_,@function
_ZN9rocsparseL14nnz_kernel_rowILi64ELi16Ell18rocsparse_bfloat16EEv16rocsparse_order_T2_S3_PKT3_lPT1_: ; @_ZN9rocsparseL14nnz_kernel_rowILi64ELi16Ell18rocsparse_bfloat16EEv16rocsparse_order_T2_S3_PKT3_lPT1_
; %bb.0:
	s_load_dword s0, s[4:5], 0x3c
	s_load_dwordx2 s[20:21], s[4:5], 0x28
	s_load_dword s38, s[4:5], 0x0
	s_load_dwordx8 s[12:19], s[4:5], 0x8
	s_lshl_b32 s33, s6, 8
	s_waitcnt lgkmcnt(0)
	s_and_b32 s0, s0, 0xffff
	v_mad_u32_u24 v28, v1, s0, v0
	v_mov_b32_e32 v19, 0
	s_ashr_i32 s0, s15, 31
	s_lshr_b32 s0, s0, 26
	s_add_u32 s0, s14, s0
	v_lshrrev_b32_e32 v0, 4, v28
	v_and_b32_e32 v29, 63, v28
	s_addc_u32 s25, s15, 0
	s_and_b32 s24, s0, 0xffffffc0
	v_and_b32_e32 v16, 0x7ffffc, v0
	v_mov_b32_e32 v17, v19
	v_or_b32_e32 v18, s33, v29
	s_sub_u32 s22, s14, s24
	v_cmp_gt_i64_e32 vcc, s[24:25], v[16:17]
	s_subb_u32 s23, s15, s25
	v_mov_b32_e32 v0, v19
	v_mov_b32_e32 v1, v19
	;; [unrolled: 1-line block ×8, first 2 shown]
	v_or_b32_e32 v20, 64, v18
	s_and_saveexec_b64 s[26:27], vcc
	s_cbranch_execz .LBB24_28
; %bb.1:
	v_or_b32_e32 v0, 0x80, v18
	v_mov_b32_e32 v1, v19
	v_cmp_gt_i64_e64 s[0:1], s[12:13], v[0:1]
	v_add_co_u32_e32 v0, vcc, s33, v29
	v_addc_co_u32_e64 v1, s[2:3], 0, 0, vcc
	v_mul_lo_u32 v6, s19, v0
	v_mul_lo_u32 v7, s18, v1
	v_mad_u64_u32 v[2:3], s[2:3], s18, v0, 0
	v_or_b32_e32 v4, 0xc0, v18
	v_mov_b32_e32 v5, v19
	v_cmp_gt_i64_e64 s[2:3], s[12:13], v[4:5]
	v_add_co_u32_e32 v4, vcc, 64, v0
	v_addc_co_u32_e32 v5, vcc, 0, v1, vcc
	v_add3_u32 v3, v3, v7, v6
	v_mul_lo_u32 v7, s19, v4
	v_mul_lo_u32 v9, s18, v5
	v_mad_u64_u32 v[4:5], s[4:5], s18, v4, 0
	v_lshlrev_b64 v[2:3], 1, v[2:3]
	v_lshrrev_b32_e32 v6, 6, v28
	v_lshlrev_b32_e32 v8, 3, v6
	v_add_co_u32_e32 v26, vcc, v2, v8
	s_movk_i32 s6, 0x80
	v_addc_co_u32_e32 v27, vcc, 0, v3, vcc
	v_add3_u32 v5, v5, v9, v7
	v_lshlrev_b64 v[2:3], 1, v[4:5]
	v_add_co_u32_e32 v4, vcc, s6, v0
	v_addc_co_u32_e32 v5, vcc, 0, v1, vcc
	v_mul_lo_u32 v7, s19, v4
	v_mul_lo_u32 v9, s18, v5
	v_mad_u64_u32 v[4:5], s[4:5], s18, v4, 0
	v_add_co_u32_e32 v30, vcc, v2, v8
	s_movk_i32 s7, 0xc0
	v_addc_co_u32_e32 v31, vcc, 0, v3, vcc
	v_add3_u32 v5, v5, v9, v7
	v_lshlrev_b64 v[2:3], 1, v[4:5]
	v_add_co_u32_e32 v4, vcc, s7, v0
	v_addc_co_u32_e32 v5, vcc, 0, v1, vcc
	v_mul_lo_u32 v7, s19, v4
	v_mul_lo_u32 v9, s18, v5
	v_mad_u64_u32 v[4:5], s[4:5], s18, v4, 0
	v_lshlrev_b64 v[0:1], 1, v[0:1]
	v_or_b32_e32 v10, 6, v8
	v_mad_u64_u32 v[22:23], s[4:5], s18, v10, v[0:1]
	v_add_co_u32_e32 v32, vcc, v2, v8
	v_add3_u32 v5, v5, v9, v7
	v_addc_co_u32_e32 v33, vcc, 0, v3, vcc
	v_lshlrev_b64 v[2:3], 1, v[4:5]
	v_mov_b32_e32 v4, v23
	v_add_co_u32_e32 v34, vcc, v2, v8
	v_or_b32_e32 v7, 4, v8
	v_mad_u64_u32 v[4:5], s[4:5], s19, v10, v[4:5]
	v_addc_co_u32_e32 v35, vcc, 0, v3, vcc
	v_mad_u64_u32 v[2:3], s[4:5], s18, v6, 0
	v_mad_u64_u32 v[23:24], s[4:5], s18, v7, v[0:1]
	;; [unrolled: 1-line block ×3, first 2 shown]
	v_mov_b32_e32 v3, v24
	v_mad_u64_u32 v[6:7], s[4:5], s19, v7, v[3:4]
	v_or_b32_e32 v7, 2, v8
	v_mad_u64_u32 v[24:25], s[4:5], s18, v7, v[0:1]
	v_mov_b32_e32 v36, v4
	v_mov_b32_e32 v3, v5
	;; [unrolled: 1-line block ×3, first 2 shown]
	v_mad_u64_u32 v[4:5], s[4:5], s19, v7, v[4:5]
	v_lshlrev_b64 v[2:3], 3, v[2:3]
	v_mov_b32_e32 v21, v19
	s_cmp_lg_u32 s38, 1
	v_cmp_gt_i64_e64 s[4:5], s[12:13], v[18:19]
	v_cmp_gt_i64_e64 s[6:7], s[12:13], v[20:21]
	v_add_co_u32_e32 v25, vcc, v2, v0
	v_mov_b32_e32 v37, v6
	s_cselect_b64 s[28:29], -1, 0
	s_lshl_b64 s[30:31], s[18:19], 7
	v_mov_b32_e32 v21, v4
	v_addc_co_u32_e32 v38, vcc, v3, v1, vcc
	v_mov_b32_e32 v0, v19
	v_mov_b32_e32 v1, v19
	;; [unrolled: 1-line block ×8, first 2 shown]
	s_mov_b64 s[34:35], 0
	s_movk_i32 s39, 0x7fff
	s_branch .LBB24_4
.LBB24_2:                               ;   in Loop: Header=BB24_4 Depth=1
	v_mov_b32_e32 v0, v8
	v_mov_b32_e32 v1, v9
	;; [unrolled: 1-line block ×8, first 2 shown]
.LBB24_3:                               ;   in Loop: Header=BB24_4 Depth=1
	s_or_b64 exec, exec, s[10:11]
	v_add_co_u32_e32 v16, vcc, 64, v16
	v_addc_co_u32_e32 v17, vcc, 0, v17, vcc
	v_add_co_u32_e32 v26, vcc, 0x80, v26
	v_addc_co_u32_e32 v27, vcc, 0, v27, vcc
	;; [unrolled: 2-line block ×5, first 2 shown]
	v_mov_b32_e32 v8, s31
	v_add_co_u32_e32 v22, vcc, s30, v22
	v_addc_co_u32_e32 v36, vcc, v36, v8, vcc
	v_add_co_u32_e32 v23, vcc, s30, v23
	v_addc_co_u32_e32 v37, vcc, v37, v8, vcc
	v_cmp_le_i64_e32 vcc, s[24:25], v[16:17]
	v_add_co_u32_e64 v24, s[8:9], s30, v24
	s_or_b64 s[34:35], vcc, s[34:35]
	v_add_co_u32_e32 v25, vcc, s30, v25
	v_addc_co_u32_e64 v21, s[8:9], v21, v8, s[8:9]
	v_addc_co_u32_e32 v38, vcc, v38, v8, vcc
	s_andn2_b64 exec, exec, s[34:35]
	s_cbranch_execz .LBB24_27
.LBB24_4:                               ; =>This Inner Loop Header: Depth=1
	v_cndmask_b32_e64 v8, 0, 1, s[28:29]
	v_cmp_ne_u32_e64 s[8:9], 1, v8
	s_and_saveexec_b64 s[36:37], s[4:5]
	s_cbranch_execnz .LBB24_8
; %bb.5:                                ;   in Loop: Header=BB24_4 Depth=1
	s_or_b64 exec, exec, s[36:37]
	s_and_saveexec_b64 s[36:37], s[6:7]
	s_cbranch_execnz .LBB24_13
.LBB24_6:                               ;   in Loop: Header=BB24_4 Depth=1
	s_or_b64 exec, exec, s[36:37]
	s_and_saveexec_b64 s[36:37], s[0:1]
	s_cbranch_execnz .LBB24_18
.LBB24_7:                               ;   in Loop: Header=BB24_4 Depth=1
	s_or_b64 exec, exec, s[36:37]
	s_and_saveexec_b64 s[10:11], s[2:3]
	s_cbranch_execz .LBB24_3
	s_branch .LBB24_23
.LBB24_8:                               ;   in Loop: Header=BB24_4 Depth=1
	s_and_b64 vcc, exec, s[8:9]
	s_mov_b64 s[10:11], -1
                                        ; implicit-def: $vgpr8_vgpr9_vgpr10_vgpr11_vgpr12_vgpr13_vgpr14_vgpr15
	s_cbranch_vccnz .LBB24_10
; %bb.9:                                ;   in Loop: Header=BB24_4 Depth=1
	v_add_co_u32_e32 v8, vcc, s16, v26
	v_mov_b32_e32 v9, s17
	v_addc_co_u32_e32 v9, vcc, v9, v27, vcc
	global_load_dwordx2 v[8:9], v[8:9], off
	v_mov_b32_e32 v13, v5
	v_mov_b32_e32 v14, v6
	;; [unrolled: 1-line block ×3, first 2 shown]
	s_waitcnt vmcnt(0)
	v_and_b32_e32 v10, 0x7fff, v8
	v_cmp_eq_u16_e32 vcc, 0, v10
	v_add_co_u32_e64 v10, s[10:11], 1, v0
	v_addc_co_u32_e64 v11, s[10:11], 0, v1, s[10:11]
	v_cndmask_b32_e32 v10, v10, v0, vcc
	v_and_b32_sdwa v8, v8, s39 dst_sel:DWORD dst_unused:UNUSED_PAD src0_sel:WORD_1 src1_sel:DWORD
	v_cndmask_b32_e32 v11, v11, v1, vcc
	v_cmp_eq_u16_e32 vcc, 0, v8
	v_add_co_u32_e64 v8, s[10:11], 1, v10
	v_addc_co_u32_e64 v12, s[10:11], 0, v11, s[10:11]
	v_cndmask_b32_e32 v8, v8, v10, vcc
	v_and_b32_e32 v10, 0x7fff, v9
	v_cndmask_b32_e32 v11, v12, v11, vcc
	v_cmp_eq_u16_e32 vcc, 0, v10
	v_add_co_u32_e64 v10, s[10:11], 1, v8
	v_addc_co_u32_e64 v12, s[10:11], 0, v11, s[10:11]
	v_cndmask_b32_e32 v8, v10, v8, vcc
	v_cndmask_b32_e32 v11, v12, v11, vcc
	v_and_b32_sdwa v9, v9, s39 dst_sel:DWORD dst_unused:UNUSED_PAD src0_sel:WORD_1 src1_sel:DWORD
	v_add_co_u32_e64 v10, s[10:11], 1, v8
	v_cmp_eq_u16_e32 vcc, 0, v9
	v_addc_co_u32_e64 v9, s[10:11], 0, v11, s[10:11]
	v_cndmask_b32_e32 v9, v9, v11, vcc
	v_cndmask_b32_e32 v8, v10, v8, vcc
	v_mov_b32_e32 v10, v2
	v_mov_b32_e32 v11, v3
	;; [unrolled: 1-line block ×3, first 2 shown]
	s_mov_b64 s[10:11], 0
.LBB24_10:                              ;   in Loop: Header=BB24_4 Depth=1
	s_andn2_b64 vcc, exec, s[10:11]
	s_cbranch_vccnz .LBB24_12
; %bb.11:                               ;   in Loop: Header=BB24_4 Depth=1
	v_mov_b32_e32 v9, s17
	v_add_co_u32_e32 v8, vcc, s16, v25
	v_addc_co_u32_e32 v9, vcc, v9, v38, vcc
	v_mov_b32_e32 v11, s17
	v_add_co_u32_e32 v10, vcc, s16, v24
	v_addc_co_u32_e32 v11, vcc, v11, v21, vcc
	;; [unrolled: 3-line block ×4, first 2 shown]
	global_load_ushort v8, v[8:9], off
	s_nop 0
	global_load_ushort v9, v[10:11], off
	s_nop 0
	global_load_ushort v10, v[12:13], off
	global_load_ushort v11, v[14:15], off
	v_add_co_u32_e32 v12, vcc, 1, v0
	v_addc_co_u32_e32 v13, vcc, 0, v1, vcc
	s_waitcnt vmcnt(3)
	v_and_b32_e32 v8, 0x7fff, v8
	v_cmp_eq_u16_e32 vcc, 0, v8
	v_cndmask_b32_e32 v0, v12, v0, vcc
	v_cndmask_b32_e32 v1, v13, v1, vcc
	v_add_co_u32_e32 v8, vcc, 1, v0
	s_waitcnt vmcnt(2)
	v_and_b32_e32 v9, 0x7fff, v9
	v_addc_co_u32_e32 v12, vcc, 0, v1, vcc
	v_cmp_eq_u16_e32 vcc, 0, v9
	v_cndmask_b32_e32 v0, v8, v0, vcc
	v_cndmask_b32_e32 v1, v12, v1, vcc
	v_add_co_u32_e32 v8, vcc, 1, v0
	s_waitcnt vmcnt(1)
	v_and_b32_e32 v10, 0x7fff, v10
	v_addc_co_u32_e32 v9, vcc, 0, v1, vcc
	;; [unrolled: 7-line block ×3, first 2 shown]
	v_cmp_eq_u16_e32 vcc, 0, v11
	v_cndmask_b32_e32 v1, v9, v1, vcc
	v_cndmask_b32_e32 v0, v8, v0, vcc
	v_mov_b32_e32 v15, v7
	v_mov_b32_e32 v14, v6
	;; [unrolled: 1-line block ×8, first 2 shown]
.LBB24_12:                              ;   in Loop: Header=BB24_4 Depth=1
	v_mov_b32_e32 v0, v8
	v_mov_b32_e32 v1, v9
	;; [unrolled: 1-line block ×8, first 2 shown]
	s_or_b64 exec, exec, s[36:37]
	s_and_saveexec_b64 s[36:37], s[6:7]
	s_cbranch_execz .LBB24_6
.LBB24_13:                              ;   in Loop: Header=BB24_4 Depth=1
	s_and_b64 vcc, exec, s[8:9]
	s_mov_b64 s[10:11], -1
                                        ; implicit-def: $vgpr8_vgpr9_vgpr10_vgpr11_vgpr12_vgpr13_vgpr14_vgpr15
	s_cbranch_vccnz .LBB24_15
; %bb.14:                               ;   in Loop: Header=BB24_4 Depth=1
	v_add_co_u32_e32 v8, vcc, s16, v30
	v_mov_b32_e32 v9, s17
	v_addc_co_u32_e32 v9, vcc, v9, v31, vcc
	global_load_dwordx2 v[8:9], v[8:9], off
	v_mov_b32_e32 v13, v5
	v_mov_b32_e32 v14, v6
	;; [unrolled: 1-line block ×3, first 2 shown]
	s_waitcnt vmcnt(0)
	v_and_b32_e32 v10, 0x7fff, v8
	v_cmp_eq_u16_e32 vcc, 0, v10
	v_add_co_u32_e64 v10, s[10:11], 1, v2
	v_addc_co_u32_e64 v11, s[10:11], 0, v3, s[10:11]
	v_cndmask_b32_e32 v10, v10, v2, vcc
	v_and_b32_sdwa v8, v8, s39 dst_sel:DWORD dst_unused:UNUSED_PAD src0_sel:WORD_1 src1_sel:DWORD
	v_cndmask_b32_e32 v11, v11, v3, vcc
	v_cmp_eq_u16_e32 vcc, 0, v8
	v_add_co_u32_e64 v8, s[10:11], 1, v10
	v_addc_co_u32_e64 v12, s[10:11], 0, v11, s[10:11]
	v_cndmask_b32_e32 v8, v8, v10, vcc
	v_and_b32_e32 v10, 0x7fff, v9
	v_cndmask_b32_e32 v11, v12, v11, vcc
	v_cmp_eq_u16_e32 vcc, 0, v10
	v_add_co_u32_e64 v10, s[10:11], 1, v8
	v_addc_co_u32_e64 v12, s[10:11], 0, v11, s[10:11]
	v_cndmask_b32_e32 v8, v10, v8, vcc
	v_and_b32_sdwa v9, v9, s39 dst_sel:DWORD dst_unused:UNUSED_PAD src0_sel:WORD_1 src1_sel:DWORD
	v_cndmask_b32_e32 v11, v12, v11, vcc
	v_cmp_eq_u16_e32 vcc, 0, v9
	v_add_co_u32_e64 v9, s[10:11], 1, v8
	v_addc_co_u32_e64 v10, s[10:11], 0, v11, s[10:11]
	v_cndmask_b32_e32 v11, v10, v11, vcc
	v_cndmask_b32_e32 v10, v9, v8, vcc
	v_mov_b32_e32 v8, v0
	v_mov_b32_e32 v9, v1
	;; [unrolled: 1-line block ×3, first 2 shown]
	s_mov_b64 s[10:11], 0
.LBB24_15:                              ;   in Loop: Header=BB24_4 Depth=1
	s_andn2_b64 vcc, exec, s[10:11]
	s_cbranch_vccnz .LBB24_17
; %bb.16:                               ;   in Loop: Header=BB24_4 Depth=1
	v_mov_b32_e32 v9, s17
	v_add_co_u32_e32 v8, vcc, s16, v25
	v_addc_co_u32_e32 v9, vcc, v9, v38, vcc
	v_mov_b32_e32 v11, s17
	v_add_co_u32_e32 v10, vcc, s16, v24
	v_addc_co_u32_e32 v11, vcc, v11, v21, vcc
	;; [unrolled: 3-line block ×4, first 2 shown]
	global_load_ushort v8, v[8:9], off offset:128
	s_nop 0
	global_load_ushort v9, v[10:11], off offset:128
	s_nop 0
	global_load_ushort v10, v[12:13], off offset:128
	global_load_ushort v11, v[14:15], off offset:128
	v_add_co_u32_e32 v12, vcc, 1, v2
	v_addc_co_u32_e32 v13, vcc, 0, v3, vcc
	s_waitcnt vmcnt(3)
	v_and_b32_e32 v8, 0x7fff, v8
	v_cmp_eq_u16_e32 vcc, 0, v8
	v_cndmask_b32_e32 v2, v12, v2, vcc
	v_cndmask_b32_e32 v3, v13, v3, vcc
	v_add_co_u32_e32 v8, vcc, 1, v2
	s_waitcnt vmcnt(2)
	v_and_b32_e32 v9, 0x7fff, v9
	v_addc_co_u32_e32 v12, vcc, 0, v3, vcc
	v_cmp_eq_u16_e32 vcc, 0, v9
	v_cndmask_b32_e32 v2, v8, v2, vcc
	v_cndmask_b32_e32 v3, v12, v3, vcc
	v_add_co_u32_e32 v8, vcc, 1, v2
	s_waitcnt vmcnt(1)
	v_and_b32_e32 v10, 0x7fff, v10
	v_addc_co_u32_e32 v9, vcc, 0, v3, vcc
	;; [unrolled: 7-line block ×3, first 2 shown]
	v_cmp_eq_u16_e32 vcc, 0, v11
	v_cndmask_b32_e32 v3, v9, v3, vcc
	v_cndmask_b32_e32 v2, v8, v2, vcc
	v_mov_b32_e32 v15, v7
	v_mov_b32_e32 v14, v6
	;; [unrolled: 1-line block ×8, first 2 shown]
.LBB24_17:                              ;   in Loop: Header=BB24_4 Depth=1
	v_mov_b32_e32 v0, v8
	v_mov_b32_e32 v1, v9
	;; [unrolled: 1-line block ×8, first 2 shown]
	s_or_b64 exec, exec, s[36:37]
	s_and_saveexec_b64 s[36:37], s[0:1]
	s_cbranch_execz .LBB24_7
.LBB24_18:                              ;   in Loop: Header=BB24_4 Depth=1
	s_and_b64 vcc, exec, s[8:9]
	s_mov_b64 s[10:11], -1
                                        ; implicit-def: $vgpr8_vgpr9_vgpr10_vgpr11_vgpr12_vgpr13_vgpr14_vgpr15
	s_cbranch_vccnz .LBB24_20
; %bb.19:                               ;   in Loop: Header=BB24_4 Depth=1
	v_add_co_u32_e32 v8, vcc, s16, v32
	v_mov_b32_e32 v9, s17
	v_addc_co_u32_e32 v9, vcc, v9, v33, vcc
	global_load_dwordx2 v[8:9], v[8:9], off
	v_mov_b32_e32 v14, v6
	v_mov_b32_e32 v15, v7
	s_waitcnt vmcnt(0)
	v_and_b32_e32 v10, 0x7fff, v8
	v_cmp_eq_u16_e32 vcc, 0, v10
	v_add_co_u32_e64 v10, s[10:11], 1, v4
	v_addc_co_u32_e64 v11, s[10:11], 0, v5, s[10:11]
	v_cndmask_b32_e32 v10, v10, v4, vcc
	v_and_b32_sdwa v8, v8, s39 dst_sel:DWORD dst_unused:UNUSED_PAD src0_sel:WORD_1 src1_sel:DWORD
	v_cndmask_b32_e32 v11, v11, v5, vcc
	v_cmp_eq_u16_e32 vcc, 0, v8
	v_add_co_u32_e64 v8, s[10:11], 1, v10
	v_addc_co_u32_e64 v12, s[10:11], 0, v11, s[10:11]
	v_cndmask_b32_e32 v8, v8, v10, vcc
	v_and_b32_e32 v10, 0x7fff, v9
	v_cndmask_b32_e32 v11, v12, v11, vcc
	v_cmp_eq_u16_e32 vcc, 0, v10
	v_add_co_u32_e64 v10, s[10:11], 1, v8
	v_addc_co_u32_e64 v12, s[10:11], 0, v11, s[10:11]
	v_cndmask_b32_e32 v8, v10, v8, vcc
	v_and_b32_sdwa v9, v9, s39 dst_sel:DWORD dst_unused:UNUSED_PAD src0_sel:WORD_1 src1_sel:DWORD
	v_cndmask_b32_e32 v11, v12, v11, vcc
	v_cmp_eq_u16_e32 vcc, 0, v9
	v_add_co_u32_e64 v9, s[10:11], 1, v8
	v_addc_co_u32_e64 v10, s[10:11], 0, v11, s[10:11]
	v_cndmask_b32_e32 v13, v10, v11, vcc
	v_cndmask_b32_e32 v12, v9, v8, vcc
	v_mov_b32_e32 v8, v0
	v_mov_b32_e32 v9, v1
	;; [unrolled: 1-line block ×4, first 2 shown]
	s_mov_b64 s[10:11], 0
.LBB24_20:                              ;   in Loop: Header=BB24_4 Depth=1
	s_andn2_b64 vcc, exec, s[10:11]
	s_cbranch_vccnz .LBB24_22
; %bb.21:                               ;   in Loop: Header=BB24_4 Depth=1
	v_mov_b32_e32 v9, s17
	v_add_co_u32_e32 v8, vcc, s16, v25
	v_addc_co_u32_e32 v9, vcc, v9, v38, vcc
	v_mov_b32_e32 v11, s17
	v_add_co_u32_e32 v10, vcc, s16, v24
	v_addc_co_u32_e32 v11, vcc, v11, v21, vcc
	;; [unrolled: 3-line block ×4, first 2 shown]
	global_load_ushort v8, v[8:9], off offset:256
	s_nop 0
	global_load_ushort v9, v[10:11], off offset:256
	s_nop 0
	global_load_ushort v10, v[12:13], off offset:256
	global_load_ushort v11, v[14:15], off offset:256
	v_add_co_u32_e32 v12, vcc, 1, v4
	v_addc_co_u32_e32 v13, vcc, 0, v5, vcc
	s_waitcnt vmcnt(3)
	v_and_b32_e32 v8, 0x7fff, v8
	v_cmp_eq_u16_e32 vcc, 0, v8
	v_cndmask_b32_e32 v4, v12, v4, vcc
	v_cndmask_b32_e32 v5, v13, v5, vcc
	v_add_co_u32_e32 v8, vcc, 1, v4
	s_waitcnt vmcnt(2)
	v_and_b32_e32 v9, 0x7fff, v9
	v_addc_co_u32_e32 v12, vcc, 0, v5, vcc
	v_cmp_eq_u16_e32 vcc, 0, v9
	v_cndmask_b32_e32 v4, v8, v4, vcc
	v_cndmask_b32_e32 v5, v12, v5, vcc
	v_add_co_u32_e32 v8, vcc, 1, v4
	s_waitcnt vmcnt(1)
	v_and_b32_e32 v10, 0x7fff, v10
	v_addc_co_u32_e32 v9, vcc, 0, v5, vcc
	;; [unrolled: 7-line block ×3, first 2 shown]
	v_cmp_eq_u16_e32 vcc, 0, v11
	v_cndmask_b32_e32 v5, v9, v5, vcc
	v_cndmask_b32_e32 v4, v8, v4, vcc
	v_mov_b32_e32 v15, v7
	v_mov_b32_e32 v14, v6
	;; [unrolled: 1-line block ×8, first 2 shown]
.LBB24_22:                              ;   in Loop: Header=BB24_4 Depth=1
	v_mov_b32_e32 v0, v8
	v_mov_b32_e32 v1, v9
	;; [unrolled: 1-line block ×8, first 2 shown]
	s_or_b64 exec, exec, s[36:37]
	s_and_saveexec_b64 s[10:11], s[2:3]
	s_cbranch_execz .LBB24_3
.LBB24_23:                              ;   in Loop: Header=BB24_4 Depth=1
	s_and_b64 vcc, exec, s[8:9]
	s_mov_b64 s[8:9], -1
                                        ; implicit-def: $vgpr8_vgpr9_vgpr10_vgpr11_vgpr12_vgpr13_vgpr14_vgpr15
	s_cbranch_vccnz .LBB24_25
; %bb.24:                               ;   in Loop: Header=BB24_4 Depth=1
	v_add_co_u32_e32 v8, vcc, s16, v34
	v_mov_b32_e32 v9, s17
	v_addc_co_u32_e32 v9, vcc, v9, v35, vcc
	global_load_dwordx2 v[8:9], v[8:9], off
	v_mov_b32_e32 v13, v5
	s_waitcnt vmcnt(0)
	v_and_b32_e32 v10, 0x7fff, v8
	v_cmp_eq_u16_e32 vcc, 0, v10
	v_add_co_u32_e64 v10, s[8:9], 1, v6
	v_addc_co_u32_e64 v11, s[8:9], 0, v7, s[8:9]
	v_cndmask_b32_e32 v10, v10, v6, vcc
	v_and_b32_sdwa v8, v8, s39 dst_sel:DWORD dst_unused:UNUSED_PAD src0_sel:WORD_1 src1_sel:DWORD
	v_cndmask_b32_e32 v11, v11, v7, vcc
	v_cmp_eq_u16_e32 vcc, 0, v8
	v_add_co_u32_e64 v8, s[8:9], 1, v10
	v_addc_co_u32_e64 v12, s[8:9], 0, v11, s[8:9]
	v_cndmask_b32_e32 v8, v8, v10, vcc
	v_and_b32_e32 v10, 0x7fff, v9
	v_cndmask_b32_e32 v11, v12, v11, vcc
	v_cmp_eq_u16_e32 vcc, 0, v10
	v_add_co_u32_e64 v10, s[8:9], 1, v8
	v_addc_co_u32_e64 v12, s[8:9], 0, v11, s[8:9]
	v_cndmask_b32_e32 v8, v10, v8, vcc
	v_and_b32_sdwa v9, v9, s39 dst_sel:DWORD dst_unused:UNUSED_PAD src0_sel:WORD_1 src1_sel:DWORD
	v_cndmask_b32_e32 v11, v12, v11, vcc
	v_cmp_eq_u16_e32 vcc, 0, v9
	v_add_co_u32_e64 v9, s[8:9], 1, v8
	v_addc_co_u32_e64 v10, s[8:9], 0, v11, s[8:9]
	v_cndmask_b32_e32 v15, v10, v11, vcc
	v_cndmask_b32_e32 v14, v9, v8, vcc
	v_mov_b32_e32 v8, v0
	v_mov_b32_e32 v9, v1
	;; [unrolled: 1-line block ×5, first 2 shown]
	s_mov_b64 s[8:9], 0
.LBB24_25:                              ;   in Loop: Header=BB24_4 Depth=1
	s_andn2_b64 vcc, exec, s[8:9]
	s_cbranch_vccnz .LBB24_2
; %bb.26:                               ;   in Loop: Header=BB24_4 Depth=1
	v_mov_b32_e32 v9, s17
	v_add_co_u32_e32 v8, vcc, s16, v25
	v_addc_co_u32_e32 v9, vcc, v9, v38, vcc
	v_mov_b32_e32 v11, s17
	v_add_co_u32_e32 v10, vcc, s16, v24
	v_addc_co_u32_e32 v11, vcc, v11, v21, vcc
	;; [unrolled: 3-line block ×4, first 2 shown]
	global_load_ushort v8, v[8:9], off offset:384
	s_nop 0
	global_load_ushort v9, v[10:11], off offset:384
	s_nop 0
	global_load_ushort v10, v[12:13], off offset:384
	global_load_ushort v11, v[14:15], off offset:384
	v_add_co_u32_e32 v12, vcc, 1, v6
	v_addc_co_u32_e32 v13, vcc, 0, v7, vcc
	s_waitcnt vmcnt(3)
	v_and_b32_e32 v8, 0x7fff, v8
	v_cmp_eq_u16_e32 vcc, 0, v8
	v_cndmask_b32_e32 v6, v12, v6, vcc
	v_cndmask_b32_e32 v7, v13, v7, vcc
	v_add_co_u32_e32 v8, vcc, 1, v6
	s_waitcnt vmcnt(2)
	v_and_b32_e32 v9, 0x7fff, v9
	v_addc_co_u32_e32 v12, vcc, 0, v7, vcc
	v_cmp_eq_u16_e32 vcc, 0, v9
	v_cndmask_b32_e32 v6, v8, v6, vcc
	v_cndmask_b32_e32 v7, v12, v7, vcc
	v_add_co_u32_e32 v8, vcc, 1, v6
	s_waitcnt vmcnt(1)
	v_and_b32_e32 v10, 0x7fff, v10
	v_addc_co_u32_e32 v9, vcc, 0, v7, vcc
	;; [unrolled: 7-line block ×3, first 2 shown]
	v_cmp_eq_u16_e32 vcc, 0, v11
	v_cndmask_b32_e32 v7, v9, v7, vcc
	v_cndmask_b32_e32 v6, v8, v6, vcc
	v_mov_b32_e32 v15, v7
	v_mov_b32_e32 v14, v6
	;; [unrolled: 1-line block ×8, first 2 shown]
	s_branch .LBB24_2
.LBB24_27:
	s_or_b64 exec, exec, s[34:35]
.LBB24_28:
	s_or_b64 exec, exec, s[26:27]
	v_cmp_lt_i64_e64 s[0:1], s[22:23], 1
	s_and_b64 vcc, exec, s[0:1]
	s_cbranch_vccnz .LBB24_134
; %bb.29:
	v_lshlrev_b64 v[8:9], 1, v[16:17]
	v_mov_b32_e32 v10, s17
	v_add_co_u32_e32 v30, vcc, s16, v8
	v_addc_co_u32_e32 v31, vcc, v10, v9, vcc
	s_cmp_lg_u32 s38, 1
	v_cmp_gt_i64_e32 vcc, s[12:13], v[18:19]
	v_lshlrev_b64 v[22:23], 1, v[18:19]
	s_cselect_b64 s[2:3], -1, 0
	s_and_saveexec_b64 s[4:5], vcc
	s_cbranch_execz .LBB24_55
; %bb.30:
	v_mad_u64_u32 v[8:9], s[0:1], v18, s18, 0
	v_cmp_gt_i64_e32 vcc, s[14:15], v[16:17]
	v_mad_u64_u32 v[9:10], s[0:1], v18, s19, v[9:10]
	v_mov_b32_e32 v10, s17
	v_lshlrev_b64 v[8:9], 1, v[8:9]
	v_add_co_u32_e64 v24, s[0:1], v30, v8
	v_addc_co_u32_e64 v25, s[0:1], v31, v9, s[0:1]
	v_add_co_u32_e64 v21, s[0:1], s16, v22
	v_addc_co_u32_e64 v32, s[0:1], v10, v23, s[0:1]
	s_and_saveexec_b64 s[0:1], vcc
	s_cbranch_execz .LBB24_36
; %bb.31:
	s_and_b64 vcc, exec, s[2:3]
	s_cbranch_vccz .LBB24_33
; %bb.32:
	global_load_ushort v26, v[24:25], off
	v_mov_b32_e32 v15, v7
	v_mov_b32_e32 v8, v0
	;; [unrolled: 1-line block ×8, first 2 shown]
	s_waitcnt vmcnt(0)
	v_and_b32_e32 v8, 0x7fff, v26
	v_cmp_ne_u16_e32 vcc, 0, v8
	v_cndmask_b32_e64 v8, 0, 1, vcc
	v_add_co_u32_e32 v8, vcc, v0, v8
	v_addc_co_u32_e32 v9, vcc, 0, v1, vcc
	s_cbranch_execz .LBB24_34
	s_branch .LBB24_35
.LBB24_33:
                                        ; implicit-def: $vgpr8_vgpr9_vgpr10_vgpr11_vgpr12_vgpr13_vgpr14_vgpr15
.LBB24_34:
	v_mul_lo_u32 v10, v17, s18
	v_mul_lo_u32 v11, v16, s19
	v_mad_u64_u32 v[8:9], s[6:7], v16, s18, 0
	v_add3_u32 v9, v9, v11, v10
	v_lshlrev_b64 v[8:9], 1, v[8:9]
	v_add_co_u32_e32 v8, vcc, v21, v8
	v_addc_co_u32_e32 v9, vcc, v32, v9, vcc
	global_load_ushort v8, v[8:9], off
	s_waitcnt vmcnt(0)
	v_and_b32_e32 v8, 0x7fff, v8
	v_cmp_ne_u16_e32 vcc, 0, v8
	v_cndmask_b32_e64 v8, 0, 1, vcc
	v_add_co_u32_e32 v0, vcc, v0, v8
	v_addc_co_u32_e32 v1, vcc, 0, v1, vcc
	v_mov_b32_e32 v15, v7
	v_mov_b32_e32 v14, v6
	;; [unrolled: 1-line block ×8, first 2 shown]
.LBB24_35:
	v_mov_b32_e32 v0, v8
	v_mov_b32_e32 v1, v9
	;; [unrolled: 1-line block ×8, first 2 shown]
.LBB24_36:
	s_or_b64 exec, exec, s[0:1]
	v_or_b32_e32 v26, 1, v16
	v_mov_b32_e32 v27, v17
	v_cmp_gt_i64_e32 vcc, s[14:15], v[26:27]
	s_and_saveexec_b64 s[0:1], vcc
	s_cbranch_execz .LBB24_42
; %bb.37:
	s_andn2_b64 vcc, exec, s[2:3]
	s_cbranch_vccnz .LBB24_39
; %bb.38:
	global_load_ushort v33, v[24:25], off offset:2
	v_mov_b32_e32 v15, v7
	v_mov_b32_e32 v8, v0
	v_mov_b32_e32 v9, v1
	v_mov_b32_e32 v14, v6
	v_mov_b32_e32 v13, v5
	v_mov_b32_e32 v12, v4
	v_mov_b32_e32 v11, v3
	v_mov_b32_e32 v10, v2
	s_waitcnt vmcnt(0)
	v_and_b32_e32 v8, 0x7fff, v33
	v_cmp_ne_u16_e32 vcc, 0, v8
	v_cndmask_b32_e64 v8, 0, 1, vcc
	v_add_co_u32_e32 v8, vcc, v0, v8
	v_addc_co_u32_e32 v9, vcc, 0, v1, vcc
	s_cbranch_execz .LBB24_40
	s_branch .LBB24_41
.LBB24_39:
                                        ; implicit-def: $vgpr8_vgpr9_vgpr10_vgpr11_vgpr12_vgpr13_vgpr14_vgpr15
.LBB24_40:
	v_mul_lo_u32 v10, v27, s18
	v_mul_lo_u32 v11, v26, s19
	v_mad_u64_u32 v[8:9], s[6:7], v26, s18, 0
	v_add3_u32 v9, v9, v11, v10
	v_lshlrev_b64 v[8:9], 1, v[8:9]
	v_add_co_u32_e32 v8, vcc, v21, v8
	v_addc_co_u32_e32 v9, vcc, v32, v9, vcc
	global_load_ushort v8, v[8:9], off
	s_waitcnt vmcnt(0)
	v_and_b32_e32 v8, 0x7fff, v8
	v_cmp_ne_u16_e32 vcc, 0, v8
	v_cndmask_b32_e64 v8, 0, 1, vcc
	v_add_co_u32_e32 v0, vcc, v0, v8
	v_addc_co_u32_e32 v1, vcc, 0, v1, vcc
	v_mov_b32_e32 v15, v7
	v_mov_b32_e32 v14, v6
	v_mov_b32_e32 v13, v5
	v_mov_b32_e32 v12, v4
	v_mov_b32_e32 v11, v3
	v_mov_b32_e32 v10, v2
	v_mov_b32_e32 v9, v1
	v_mov_b32_e32 v8, v0
.LBB24_41:
	v_mov_b32_e32 v0, v8
	v_mov_b32_e32 v1, v9
	v_mov_b32_e32 v2, v10
	v_mov_b32_e32 v3, v11
	v_mov_b32_e32 v4, v12
	v_mov_b32_e32 v5, v13
	v_mov_b32_e32 v6, v14
	v_mov_b32_e32 v7, v15
.LBB24_42:
	s_or_b64 exec, exec, s[0:1]
	v_or_b32_e32 v26, 2, v16
	v_mov_b32_e32 v27, v17
	v_cmp_gt_i64_e32 vcc, s[14:15], v[26:27]
	s_and_saveexec_b64 s[0:1], vcc
	s_cbranch_execz .LBB24_48
; %bb.43:
	s_andn2_b64 vcc, exec, s[2:3]
	s_cbranch_vccnz .LBB24_45
; %bb.44:
	global_load_ushort v33, v[24:25], off offset:4
	v_mov_b32_e32 v15, v7
	v_mov_b32_e32 v8, v0
	v_mov_b32_e32 v9, v1
	v_mov_b32_e32 v14, v6
	v_mov_b32_e32 v13, v5
	v_mov_b32_e32 v12, v4
	v_mov_b32_e32 v11, v3
	v_mov_b32_e32 v10, v2
	s_waitcnt vmcnt(0)
	v_and_b32_e32 v8, 0x7fff, v33
	v_cmp_ne_u16_e32 vcc, 0, v8
	v_cndmask_b32_e64 v8, 0, 1, vcc
	v_add_co_u32_e32 v8, vcc, v0, v8
	v_addc_co_u32_e32 v9, vcc, 0, v1, vcc
	s_cbranch_execz .LBB24_46
	s_branch .LBB24_47
.LBB24_45:
                                        ; implicit-def: $vgpr8_vgpr9_vgpr10_vgpr11_vgpr12_vgpr13_vgpr14_vgpr15
.LBB24_46:
	v_mul_lo_u32 v10, v27, s18
	v_mul_lo_u32 v11, v26, s19
	v_mad_u64_u32 v[8:9], s[6:7], v26, s18, 0
	v_add3_u32 v9, v9, v11, v10
	v_lshlrev_b64 v[8:9], 1, v[8:9]
	v_add_co_u32_e32 v8, vcc, v21, v8
	v_addc_co_u32_e32 v9, vcc, v32, v9, vcc
	global_load_ushort v8, v[8:9], off
	s_waitcnt vmcnt(0)
	v_and_b32_e32 v8, 0x7fff, v8
	v_cmp_ne_u16_e32 vcc, 0, v8
	v_cndmask_b32_e64 v8, 0, 1, vcc
	v_add_co_u32_e32 v0, vcc, v0, v8
	v_addc_co_u32_e32 v1, vcc, 0, v1, vcc
	v_mov_b32_e32 v15, v7
	v_mov_b32_e32 v14, v6
	v_mov_b32_e32 v13, v5
	v_mov_b32_e32 v12, v4
	v_mov_b32_e32 v11, v3
	v_mov_b32_e32 v10, v2
	v_mov_b32_e32 v9, v1
	v_mov_b32_e32 v8, v0
.LBB24_47:
	v_mov_b32_e32 v0, v8
	v_mov_b32_e32 v1, v9
	v_mov_b32_e32 v2, v10
	v_mov_b32_e32 v3, v11
	v_mov_b32_e32 v4, v12
	v_mov_b32_e32 v5, v13
	v_mov_b32_e32 v6, v14
	v_mov_b32_e32 v7, v15
.LBB24_48:
	;; [unrolled: 62-line block ×3, first 2 shown]
	s_or_b64 exec, exec, s[0:1]
.LBB24_55:
	s_or_b64 exec, exec, s[4:5]
	v_mov_b32_e32 v21, v19
	v_cmp_gt_i64_e32 vcc, s[12:13], v[20:21]
	s_and_saveexec_b64 s[4:5], vcc
	s_cbranch_execz .LBB24_81
; %bb.56:
	v_mad_u64_u32 v[8:9], s[0:1], v20, s18, 0
	v_cmp_gt_i64_e32 vcc, s[14:15], v[16:17]
	v_mad_u64_u32 v[9:10], s[0:1], v20, s19, v[9:10]
	v_mov_b32_e32 v10, s17
	v_lshlrev_b64 v[8:9], 1, v[8:9]
	v_add_co_u32_e64 v20, s[0:1], v30, v8
	v_addc_co_u32_e64 v21, s[0:1], v31, v9, s[0:1]
	v_add_co_u32_e64 v26, s[0:1], s16, v22
	v_addc_co_u32_e64 v27, s[0:1], v10, v23, s[0:1]
	s_and_saveexec_b64 s[0:1], vcc
	s_cbranch_execz .LBB24_62
; %bb.57:
	s_andn2_b64 vcc, exec, s[2:3]
	s_cbranch_vccnz .LBB24_59
; %bb.58:
	global_load_ushort v24, v[20:21], off
	v_mov_b32_e32 v15, v7
	v_mov_b32_e32 v10, v2
	;; [unrolled: 1-line block ×8, first 2 shown]
	s_waitcnt vmcnt(0)
	v_and_b32_e32 v10, 0x7fff, v24
	v_cmp_ne_u16_e32 vcc, 0, v10
	v_cndmask_b32_e64 v10, 0, 1, vcc
	v_add_co_u32_e32 v10, vcc, v2, v10
	v_addc_co_u32_e32 v11, vcc, 0, v3, vcc
	s_cbranch_execz .LBB24_60
	s_branch .LBB24_61
.LBB24_59:
                                        ; implicit-def: $vgpr8_vgpr9_vgpr10_vgpr11_vgpr12_vgpr13_vgpr14_vgpr15
.LBB24_60:
	v_mul_lo_u32 v10, v17, s18
	v_mul_lo_u32 v11, v16, s19
	v_mad_u64_u32 v[8:9], s[6:7], v16, s18, 0
	v_add3_u32 v9, v9, v11, v10
	v_lshlrev_b64 v[8:9], 1, v[8:9]
	v_add_co_u32_e32 v8, vcc, v26, v8
	v_addc_co_u32_e32 v9, vcc, v27, v9, vcc
	global_load_ushort v8, v[8:9], off offset:128
	s_waitcnt vmcnt(0)
	v_and_b32_e32 v8, 0x7fff, v8
	v_cmp_ne_u16_e32 vcc, 0, v8
	v_cndmask_b32_e64 v8, 0, 1, vcc
	v_add_co_u32_e32 v2, vcc, v2, v8
	v_addc_co_u32_e32 v3, vcc, 0, v3, vcc
	v_mov_b32_e32 v15, v7
	v_mov_b32_e32 v14, v6
	;; [unrolled: 1-line block ×8, first 2 shown]
.LBB24_61:
	v_mov_b32_e32 v0, v8
	v_mov_b32_e32 v1, v9
	;; [unrolled: 1-line block ×8, first 2 shown]
.LBB24_62:
	s_or_b64 exec, exec, s[0:1]
	v_or_b32_e32 v24, 1, v16
	v_mov_b32_e32 v25, v17
	v_cmp_gt_i64_e32 vcc, s[14:15], v[24:25]
	s_and_saveexec_b64 s[0:1], vcc
	s_cbranch_execz .LBB24_68
; %bb.63:
	s_andn2_b64 vcc, exec, s[2:3]
	s_cbranch_vccnz .LBB24_65
; %bb.64:
	global_load_ushort v32, v[20:21], off offset:2
	v_mov_b32_e32 v15, v7
	v_mov_b32_e32 v10, v2
	v_mov_b32_e32 v11, v3
	v_mov_b32_e32 v14, v6
	v_mov_b32_e32 v13, v5
	v_mov_b32_e32 v12, v4
	v_mov_b32_e32 v9, v1
	v_mov_b32_e32 v8, v0
	s_waitcnt vmcnt(0)
	v_and_b32_e32 v10, 0x7fff, v32
	v_cmp_ne_u16_e32 vcc, 0, v10
	v_cndmask_b32_e64 v10, 0, 1, vcc
	v_add_co_u32_e32 v10, vcc, v2, v10
	v_addc_co_u32_e32 v11, vcc, 0, v3, vcc
	s_cbranch_execz .LBB24_66
	s_branch .LBB24_67
.LBB24_65:
                                        ; implicit-def: $vgpr8_vgpr9_vgpr10_vgpr11_vgpr12_vgpr13_vgpr14_vgpr15
.LBB24_66:
	v_mul_lo_u32 v10, v25, s18
	v_mul_lo_u32 v11, v24, s19
	v_mad_u64_u32 v[8:9], s[6:7], v24, s18, 0
	v_add3_u32 v9, v9, v11, v10
	v_lshlrev_b64 v[8:9], 1, v[8:9]
	v_add_co_u32_e32 v8, vcc, v26, v8
	v_addc_co_u32_e32 v9, vcc, v27, v9, vcc
	global_load_ushort v8, v[8:9], off offset:128
	s_waitcnt vmcnt(0)
	v_and_b32_e32 v8, 0x7fff, v8
	v_cmp_ne_u16_e32 vcc, 0, v8
	v_cndmask_b32_e64 v8, 0, 1, vcc
	v_add_co_u32_e32 v2, vcc, v2, v8
	v_addc_co_u32_e32 v3, vcc, 0, v3, vcc
	v_mov_b32_e32 v15, v7
	v_mov_b32_e32 v14, v6
	v_mov_b32_e32 v13, v5
	v_mov_b32_e32 v12, v4
	v_mov_b32_e32 v11, v3
	v_mov_b32_e32 v10, v2
	v_mov_b32_e32 v9, v1
	v_mov_b32_e32 v8, v0
.LBB24_67:
	v_mov_b32_e32 v0, v8
	v_mov_b32_e32 v1, v9
	v_mov_b32_e32 v2, v10
	v_mov_b32_e32 v3, v11
	v_mov_b32_e32 v4, v12
	v_mov_b32_e32 v5, v13
	v_mov_b32_e32 v6, v14
	v_mov_b32_e32 v7, v15
.LBB24_68:
	s_or_b64 exec, exec, s[0:1]
	v_or_b32_e32 v24, 2, v16
	v_mov_b32_e32 v25, v17
	v_cmp_gt_i64_e32 vcc, s[14:15], v[24:25]
	s_and_saveexec_b64 s[0:1], vcc
	s_cbranch_execz .LBB24_74
; %bb.69:
	s_andn2_b64 vcc, exec, s[2:3]
	s_cbranch_vccnz .LBB24_71
; %bb.70:
	global_load_ushort v32, v[20:21], off offset:4
	v_mov_b32_e32 v15, v7
	v_mov_b32_e32 v10, v2
	v_mov_b32_e32 v11, v3
	v_mov_b32_e32 v14, v6
	v_mov_b32_e32 v13, v5
	v_mov_b32_e32 v12, v4
	v_mov_b32_e32 v9, v1
	v_mov_b32_e32 v8, v0
	s_waitcnt vmcnt(0)
	v_and_b32_e32 v10, 0x7fff, v32
	v_cmp_ne_u16_e32 vcc, 0, v10
	v_cndmask_b32_e64 v10, 0, 1, vcc
	v_add_co_u32_e32 v10, vcc, v2, v10
	v_addc_co_u32_e32 v11, vcc, 0, v3, vcc
	s_cbranch_execz .LBB24_72
	s_branch .LBB24_73
.LBB24_71:
                                        ; implicit-def: $vgpr8_vgpr9_vgpr10_vgpr11_vgpr12_vgpr13_vgpr14_vgpr15
.LBB24_72:
	v_mul_lo_u32 v10, v25, s18
	v_mul_lo_u32 v11, v24, s19
	v_mad_u64_u32 v[8:9], s[6:7], v24, s18, 0
	v_add3_u32 v9, v9, v11, v10
	v_lshlrev_b64 v[8:9], 1, v[8:9]
	v_add_co_u32_e32 v8, vcc, v26, v8
	v_addc_co_u32_e32 v9, vcc, v27, v9, vcc
	global_load_ushort v8, v[8:9], off offset:128
	s_waitcnt vmcnt(0)
	v_and_b32_e32 v8, 0x7fff, v8
	v_cmp_ne_u16_e32 vcc, 0, v8
	v_cndmask_b32_e64 v8, 0, 1, vcc
	v_add_co_u32_e32 v2, vcc, v2, v8
	v_addc_co_u32_e32 v3, vcc, 0, v3, vcc
	v_mov_b32_e32 v15, v7
	v_mov_b32_e32 v14, v6
	v_mov_b32_e32 v13, v5
	v_mov_b32_e32 v12, v4
	v_mov_b32_e32 v11, v3
	v_mov_b32_e32 v10, v2
	v_mov_b32_e32 v9, v1
	v_mov_b32_e32 v8, v0
.LBB24_73:
	v_mov_b32_e32 v0, v8
	v_mov_b32_e32 v1, v9
	v_mov_b32_e32 v2, v10
	v_mov_b32_e32 v3, v11
	v_mov_b32_e32 v4, v12
	v_mov_b32_e32 v5, v13
	v_mov_b32_e32 v6, v14
	v_mov_b32_e32 v7, v15
.LBB24_74:
	;; [unrolled: 62-line block ×3, first 2 shown]
	s_or_b64 exec, exec, s[0:1]
.LBB24_81:
	s_or_b64 exec, exec, s[4:5]
	v_or_b32_e32 v8, 0x80, v18
	v_mov_b32_e32 v9, v19
	v_cmp_gt_i64_e32 vcc, s[12:13], v[8:9]
	s_and_saveexec_b64 s[4:5], vcc
	s_cbranch_execz .LBB24_107
; %bb.82:
	v_mad_u64_u32 v[9:10], s[0:1], v8, s18, 0
	v_cmp_gt_i64_e32 vcc, s[14:15], v[16:17]
	v_mad_u64_u32 v[10:11], s[0:1], v8, s19, v[10:11]
	v_mov_b32_e32 v11, s17
	v_lshlrev_b64 v[8:9], 1, v[9:10]
	v_add_co_u32_e64 v20, s[0:1], v30, v8
	v_addc_co_u32_e64 v21, s[0:1], v31, v9, s[0:1]
	v_add_co_u32_e64 v26, s[0:1], s16, v22
	v_addc_co_u32_e64 v27, s[0:1], v11, v23, s[0:1]
	s_and_saveexec_b64 s[0:1], vcc
	s_cbranch_execz .LBB24_88
; %bb.83:
	s_andn2_b64 vcc, exec, s[2:3]
	s_cbranch_vccnz .LBB24_85
; %bb.84:
	global_load_ushort v24, v[20:21], off
	v_mov_b32_e32 v15, v7
	v_mov_b32_e32 v12, v4
	;; [unrolled: 1-line block ×8, first 2 shown]
	s_waitcnt vmcnt(0)
	v_and_b32_e32 v12, 0x7fff, v24
	v_cmp_ne_u16_e32 vcc, 0, v12
	v_cndmask_b32_e64 v12, 0, 1, vcc
	v_add_co_u32_e32 v12, vcc, v4, v12
	v_addc_co_u32_e32 v13, vcc, 0, v5, vcc
	s_cbranch_execz .LBB24_86
	s_branch .LBB24_87
.LBB24_85:
                                        ; implicit-def: $vgpr8_vgpr9_vgpr10_vgpr11_vgpr12_vgpr13_vgpr14_vgpr15
.LBB24_86:
	v_mul_lo_u32 v10, v17, s18
	v_mul_lo_u32 v11, v16, s19
	v_mad_u64_u32 v[8:9], s[6:7], v16, s18, 0
	v_add3_u32 v9, v9, v11, v10
	v_lshlrev_b64 v[8:9], 1, v[8:9]
	v_add_co_u32_e32 v8, vcc, v26, v8
	v_addc_co_u32_e32 v9, vcc, v27, v9, vcc
	global_load_ushort v8, v[8:9], off offset:256
	s_waitcnt vmcnt(0)
	v_and_b32_e32 v8, 0x7fff, v8
	v_cmp_ne_u16_e32 vcc, 0, v8
	v_cndmask_b32_e64 v8, 0, 1, vcc
	v_add_co_u32_e32 v4, vcc, v4, v8
	v_addc_co_u32_e32 v5, vcc, 0, v5, vcc
	v_mov_b32_e32 v15, v7
	v_mov_b32_e32 v14, v6
	;; [unrolled: 1-line block ×8, first 2 shown]
.LBB24_87:
	v_mov_b32_e32 v0, v8
	v_mov_b32_e32 v1, v9
	;; [unrolled: 1-line block ×8, first 2 shown]
.LBB24_88:
	s_or_b64 exec, exec, s[0:1]
	v_or_b32_e32 v24, 1, v16
	v_mov_b32_e32 v25, v17
	v_cmp_gt_i64_e32 vcc, s[14:15], v[24:25]
	s_and_saveexec_b64 s[0:1], vcc
	s_cbranch_execz .LBB24_94
; %bb.89:
	s_andn2_b64 vcc, exec, s[2:3]
	s_cbranch_vccnz .LBB24_91
; %bb.90:
	global_load_ushort v32, v[20:21], off offset:2
	v_mov_b32_e32 v15, v7
	v_mov_b32_e32 v12, v4
	v_mov_b32_e32 v13, v5
	v_mov_b32_e32 v14, v6
	v_mov_b32_e32 v11, v3
	v_mov_b32_e32 v10, v2
	v_mov_b32_e32 v9, v1
	v_mov_b32_e32 v8, v0
	s_waitcnt vmcnt(0)
	v_and_b32_e32 v12, 0x7fff, v32
	v_cmp_ne_u16_e32 vcc, 0, v12
	v_cndmask_b32_e64 v12, 0, 1, vcc
	v_add_co_u32_e32 v12, vcc, v4, v12
	v_addc_co_u32_e32 v13, vcc, 0, v5, vcc
	s_cbranch_execz .LBB24_92
	s_branch .LBB24_93
.LBB24_91:
                                        ; implicit-def: $vgpr8_vgpr9_vgpr10_vgpr11_vgpr12_vgpr13_vgpr14_vgpr15
.LBB24_92:
	v_mul_lo_u32 v10, v25, s18
	v_mul_lo_u32 v11, v24, s19
	v_mad_u64_u32 v[8:9], s[6:7], v24, s18, 0
	v_add3_u32 v9, v9, v11, v10
	v_lshlrev_b64 v[8:9], 1, v[8:9]
	v_add_co_u32_e32 v8, vcc, v26, v8
	v_addc_co_u32_e32 v9, vcc, v27, v9, vcc
	global_load_ushort v8, v[8:9], off offset:256
	s_waitcnt vmcnt(0)
	v_and_b32_e32 v8, 0x7fff, v8
	v_cmp_ne_u16_e32 vcc, 0, v8
	v_cndmask_b32_e64 v8, 0, 1, vcc
	v_add_co_u32_e32 v4, vcc, v4, v8
	v_addc_co_u32_e32 v5, vcc, 0, v5, vcc
	v_mov_b32_e32 v15, v7
	v_mov_b32_e32 v14, v6
	v_mov_b32_e32 v13, v5
	v_mov_b32_e32 v12, v4
	v_mov_b32_e32 v11, v3
	v_mov_b32_e32 v10, v2
	v_mov_b32_e32 v9, v1
	v_mov_b32_e32 v8, v0
.LBB24_93:
	v_mov_b32_e32 v0, v8
	v_mov_b32_e32 v1, v9
	v_mov_b32_e32 v2, v10
	v_mov_b32_e32 v3, v11
	v_mov_b32_e32 v4, v12
	v_mov_b32_e32 v5, v13
	v_mov_b32_e32 v6, v14
	v_mov_b32_e32 v7, v15
.LBB24_94:
	s_or_b64 exec, exec, s[0:1]
	v_or_b32_e32 v24, 2, v16
	v_mov_b32_e32 v25, v17
	v_cmp_gt_i64_e32 vcc, s[14:15], v[24:25]
	s_and_saveexec_b64 s[0:1], vcc
	s_cbranch_execz .LBB24_100
; %bb.95:
	s_andn2_b64 vcc, exec, s[2:3]
	s_cbranch_vccnz .LBB24_97
; %bb.96:
	global_load_ushort v32, v[20:21], off offset:4
	v_mov_b32_e32 v15, v7
	v_mov_b32_e32 v12, v4
	v_mov_b32_e32 v13, v5
	v_mov_b32_e32 v14, v6
	v_mov_b32_e32 v11, v3
	v_mov_b32_e32 v10, v2
	v_mov_b32_e32 v9, v1
	v_mov_b32_e32 v8, v0
	s_waitcnt vmcnt(0)
	v_and_b32_e32 v12, 0x7fff, v32
	v_cmp_ne_u16_e32 vcc, 0, v12
	v_cndmask_b32_e64 v12, 0, 1, vcc
	v_add_co_u32_e32 v12, vcc, v4, v12
	v_addc_co_u32_e32 v13, vcc, 0, v5, vcc
	s_cbranch_execz .LBB24_98
	s_branch .LBB24_99
.LBB24_97:
                                        ; implicit-def: $vgpr8_vgpr9_vgpr10_vgpr11_vgpr12_vgpr13_vgpr14_vgpr15
.LBB24_98:
	v_mul_lo_u32 v10, v25, s18
	v_mul_lo_u32 v11, v24, s19
	v_mad_u64_u32 v[8:9], s[6:7], v24, s18, 0
	v_add3_u32 v9, v9, v11, v10
	v_lshlrev_b64 v[8:9], 1, v[8:9]
	v_add_co_u32_e32 v8, vcc, v26, v8
	v_addc_co_u32_e32 v9, vcc, v27, v9, vcc
	global_load_ushort v8, v[8:9], off offset:256
	s_waitcnt vmcnt(0)
	v_and_b32_e32 v8, 0x7fff, v8
	v_cmp_ne_u16_e32 vcc, 0, v8
	v_cndmask_b32_e64 v8, 0, 1, vcc
	v_add_co_u32_e32 v4, vcc, v4, v8
	v_addc_co_u32_e32 v5, vcc, 0, v5, vcc
	v_mov_b32_e32 v15, v7
	v_mov_b32_e32 v14, v6
	v_mov_b32_e32 v13, v5
	v_mov_b32_e32 v12, v4
	v_mov_b32_e32 v11, v3
	v_mov_b32_e32 v10, v2
	v_mov_b32_e32 v9, v1
	v_mov_b32_e32 v8, v0
.LBB24_99:
	v_mov_b32_e32 v0, v8
	v_mov_b32_e32 v1, v9
	v_mov_b32_e32 v2, v10
	v_mov_b32_e32 v3, v11
	v_mov_b32_e32 v4, v12
	v_mov_b32_e32 v5, v13
	v_mov_b32_e32 v6, v14
	v_mov_b32_e32 v7, v15
.LBB24_100:
	s_or_b64 exec, exec, s[0:1]
	v_or_b32_e32 v24, 3, v16
	v_mov_b32_e32 v25, v17
	v_cmp_gt_i64_e32 vcc, s[14:15], v[24:25]
	s_and_saveexec_b64 s[0:1], vcc
	s_cbranch_execz .LBB24_106
; %bb.101:
	s_andn2_b64 vcc, exec, s[2:3]
	s_cbranch_vccnz .LBB24_103
; %bb.102:
	global_load_ushort v20, v[20:21], off offset:6
	v_mov_b32_e32 v15, v7
	v_mov_b32_e32 v12, v4
	v_mov_b32_e32 v13, v5
	v_mov_b32_e32 v14, v6
	v_mov_b32_e32 v11, v3
	v_mov_b32_e32 v10, v2
	v_mov_b32_e32 v9, v1
	v_mov_b32_e32 v8, v0
	s_waitcnt vmcnt(0)
	v_and_b32_e32 v12, 0x7fff, v20
	v_cmp_ne_u16_e32 vcc, 0, v12
	v_cndmask_b32_e64 v12, 0, 1, vcc
	v_add_co_u32_e32 v12, vcc, v4, v12
	v_addc_co_u32_e32 v13, vcc, 0, v5, vcc
	s_cbranch_execz .LBB24_104
	s_branch .LBB24_105
.LBB24_103:
                                        ; implicit-def: $vgpr8_vgpr9_vgpr10_vgpr11_vgpr12_vgpr13_vgpr14_vgpr15
.LBB24_104:
	v_mul_lo_u32 v10, v25, s18
	v_mul_lo_u32 v11, v24, s19
	v_mad_u64_u32 v[8:9], s[6:7], v24, s18, 0
	v_add3_u32 v9, v9, v11, v10
	v_lshlrev_b64 v[8:9], 1, v[8:9]
	v_add_co_u32_e32 v8, vcc, v26, v8
	v_addc_co_u32_e32 v9, vcc, v27, v9, vcc
	global_load_ushort v8, v[8:9], off offset:256
	s_waitcnt vmcnt(0)
	v_and_b32_e32 v8, 0x7fff, v8
	v_cmp_ne_u16_e32 vcc, 0, v8
	v_cndmask_b32_e64 v8, 0, 1, vcc
	v_add_co_u32_e32 v4, vcc, v4, v8
	v_addc_co_u32_e32 v5, vcc, 0, v5, vcc
	v_mov_b32_e32 v15, v7
	v_mov_b32_e32 v14, v6
	v_mov_b32_e32 v13, v5
	v_mov_b32_e32 v12, v4
	v_mov_b32_e32 v11, v3
	v_mov_b32_e32 v10, v2
	v_mov_b32_e32 v9, v1
	v_mov_b32_e32 v8, v0
.LBB24_105:
	v_mov_b32_e32 v0, v8
	v_mov_b32_e32 v1, v9
	v_mov_b32_e32 v2, v10
	v_mov_b32_e32 v3, v11
	v_mov_b32_e32 v4, v12
	v_mov_b32_e32 v5, v13
	v_mov_b32_e32 v6, v14
	v_mov_b32_e32 v7, v15
.LBB24_106:
	s_or_b64 exec, exec, s[0:1]
.LBB24_107:
	s_or_b64 exec, exec, s[4:5]
	v_or_b32_e32 v18, 0xc0, v18
	v_cmp_gt_i64_e32 vcc, s[12:13], v[18:19]
	s_and_saveexec_b64 s[4:5], vcc
	s_cbranch_execz .LBB24_133
; %bb.108:
	v_mad_u64_u32 v[8:9], s[0:1], v18, s18, 0
	v_mad_u64_u32 v[9:10], s[0:1], v18, s19, v[9:10]
	v_mov_b32_e32 v10, s17
	v_lshlrev_b64 v[8:9], 1, v[8:9]
	v_add_co_u32_e32 v18, vcc, v30, v8
	v_addc_co_u32_e32 v19, vcc, v31, v9, vcc
	v_add_co_u32_e32 v22, vcc, s16, v22
	v_addc_co_u32_e32 v23, vcc, v10, v23, vcc
	v_cmp_gt_i64_e32 vcc, s[14:15], v[16:17]
	v_cndmask_b32_e64 v8, 0, 1, s[2:3]
	v_cmp_ne_u32_e64 s[0:1], 1, v8
	s_and_saveexec_b64 s[2:3], vcc
	s_cbranch_execz .LBB24_114
; %bb.109:
	s_and_b64 vcc, exec, s[0:1]
	s_cbranch_vccnz .LBB24_111
; %bb.110:
	global_load_ushort v20, v[18:19], off
	v_mov_b32_e32 v15, v7
	v_mov_b32_e32 v14, v6
	;; [unrolled: 1-line block ×8, first 2 shown]
	s_waitcnt vmcnt(0)
	v_and_b32_e32 v14, 0x7fff, v20
	v_cmp_ne_u16_e32 vcc, 0, v14
	v_cndmask_b32_e64 v14, 0, 1, vcc
	v_add_co_u32_e32 v14, vcc, v6, v14
	v_addc_co_u32_e32 v15, vcc, 0, v7, vcc
	s_cbranch_execz .LBB24_112
	s_branch .LBB24_113
.LBB24_111:
                                        ; implicit-def: $vgpr8_vgpr9_vgpr10_vgpr11_vgpr12_vgpr13_vgpr14_vgpr15
.LBB24_112:
	v_mul_lo_u32 v10, v17, s18
	v_mul_lo_u32 v11, v16, s19
	v_mad_u64_u32 v[8:9], s[6:7], v16, s18, 0
	v_add3_u32 v9, v9, v11, v10
	v_lshlrev_b64 v[8:9], 1, v[8:9]
	v_add_co_u32_e32 v8, vcc, v22, v8
	v_addc_co_u32_e32 v9, vcc, v23, v9, vcc
	global_load_ushort v8, v[8:9], off offset:384
	s_waitcnt vmcnt(0)
	v_and_b32_e32 v8, 0x7fff, v8
	v_cmp_ne_u16_e32 vcc, 0, v8
	v_cndmask_b32_e64 v8, 0, 1, vcc
	v_add_co_u32_e32 v6, vcc, v6, v8
	v_addc_co_u32_e32 v7, vcc, 0, v7, vcc
	v_mov_b32_e32 v15, v7
	v_mov_b32_e32 v14, v6
	;; [unrolled: 1-line block ×8, first 2 shown]
.LBB24_113:
	v_mov_b32_e32 v0, v8
	v_mov_b32_e32 v1, v9
	;; [unrolled: 1-line block ×8, first 2 shown]
.LBB24_114:
	s_or_b64 exec, exec, s[2:3]
	v_or_b32_e32 v20, 1, v16
	v_mov_b32_e32 v21, v17
	v_cmp_gt_i64_e32 vcc, s[14:15], v[20:21]
	s_and_saveexec_b64 s[2:3], vcc
	s_cbranch_execz .LBB24_120
; %bb.115:
	s_and_b64 vcc, exec, s[0:1]
	s_cbranch_vccnz .LBB24_117
; %bb.116:
	global_load_ushort v24, v[18:19], off offset:2
	v_mov_b32_e32 v15, v7
	v_mov_b32_e32 v14, v6
	;; [unrolled: 1-line block ×8, first 2 shown]
	s_waitcnt vmcnt(0)
	v_and_b32_e32 v14, 0x7fff, v24
	v_cmp_ne_u16_e32 vcc, 0, v14
	v_cndmask_b32_e64 v14, 0, 1, vcc
	v_add_co_u32_e32 v14, vcc, v6, v14
	v_addc_co_u32_e32 v15, vcc, 0, v7, vcc
	s_cbranch_execz .LBB24_118
	s_branch .LBB24_119
.LBB24_117:
                                        ; implicit-def: $vgpr8_vgpr9_vgpr10_vgpr11_vgpr12_vgpr13_vgpr14_vgpr15
.LBB24_118:
	v_mul_lo_u32 v10, v21, s18
	v_mul_lo_u32 v11, v20, s19
	v_mad_u64_u32 v[8:9], s[6:7], v20, s18, 0
	v_add3_u32 v9, v9, v11, v10
	v_lshlrev_b64 v[8:9], 1, v[8:9]
	v_add_co_u32_e32 v8, vcc, v22, v8
	v_addc_co_u32_e32 v9, vcc, v23, v9, vcc
	global_load_ushort v8, v[8:9], off offset:384
	s_waitcnt vmcnt(0)
	v_and_b32_e32 v8, 0x7fff, v8
	v_cmp_ne_u16_e32 vcc, 0, v8
	v_cndmask_b32_e64 v8, 0, 1, vcc
	v_add_co_u32_e32 v6, vcc, v6, v8
	v_addc_co_u32_e32 v7, vcc, 0, v7, vcc
	v_mov_b32_e32 v15, v7
	v_mov_b32_e32 v14, v6
	;; [unrolled: 1-line block ×8, first 2 shown]
.LBB24_119:
	v_mov_b32_e32 v0, v8
	v_mov_b32_e32 v1, v9
	;; [unrolled: 1-line block ×8, first 2 shown]
.LBB24_120:
	s_or_b64 exec, exec, s[2:3]
	v_or_b32_e32 v20, 2, v16
	v_mov_b32_e32 v21, v17
	v_cmp_gt_i64_e32 vcc, s[14:15], v[20:21]
	s_and_saveexec_b64 s[2:3], vcc
	s_cbranch_execz .LBB24_126
; %bb.121:
	s_and_b64 vcc, exec, s[0:1]
	s_cbranch_vccnz .LBB24_123
; %bb.122:
	global_load_ushort v24, v[18:19], off offset:4
	v_mov_b32_e32 v15, v7
	v_mov_b32_e32 v14, v6
	;; [unrolled: 1-line block ×8, first 2 shown]
	s_waitcnt vmcnt(0)
	v_and_b32_e32 v14, 0x7fff, v24
	v_cmp_ne_u16_e32 vcc, 0, v14
	v_cndmask_b32_e64 v14, 0, 1, vcc
	v_add_co_u32_e32 v14, vcc, v6, v14
	v_addc_co_u32_e32 v15, vcc, 0, v7, vcc
	s_cbranch_execz .LBB24_124
	s_branch .LBB24_125
.LBB24_123:
                                        ; implicit-def: $vgpr8_vgpr9_vgpr10_vgpr11_vgpr12_vgpr13_vgpr14_vgpr15
.LBB24_124:
	v_mul_lo_u32 v10, v21, s18
	v_mul_lo_u32 v11, v20, s19
	v_mad_u64_u32 v[8:9], s[6:7], v20, s18, 0
	v_add3_u32 v9, v9, v11, v10
	v_lshlrev_b64 v[8:9], 1, v[8:9]
	v_add_co_u32_e32 v8, vcc, v22, v8
	v_addc_co_u32_e32 v9, vcc, v23, v9, vcc
	global_load_ushort v8, v[8:9], off offset:384
	s_waitcnt vmcnt(0)
	v_and_b32_e32 v8, 0x7fff, v8
	v_cmp_ne_u16_e32 vcc, 0, v8
	v_cndmask_b32_e64 v8, 0, 1, vcc
	v_add_co_u32_e32 v6, vcc, v6, v8
	v_addc_co_u32_e32 v7, vcc, 0, v7, vcc
	v_mov_b32_e32 v15, v7
	v_mov_b32_e32 v14, v6
	;; [unrolled: 1-line block ×8, first 2 shown]
.LBB24_125:
	v_mov_b32_e32 v0, v8
	v_mov_b32_e32 v1, v9
	;; [unrolled: 1-line block ×8, first 2 shown]
.LBB24_126:
	s_or_b64 exec, exec, s[2:3]
	v_or_b32_e32 v16, 3, v16
	v_cmp_gt_i64_e32 vcc, s[14:15], v[16:17]
	s_and_saveexec_b64 s[2:3], vcc
	s_cbranch_execz .LBB24_132
; %bb.127:
	s_and_b64 vcc, exec, s[0:1]
	s_cbranch_vccnz .LBB24_129
; %bb.128:
	global_load_ushort v18, v[18:19], off offset:6
	v_mov_b32_e32 v15, v7
	v_mov_b32_e32 v14, v6
	;; [unrolled: 1-line block ×8, first 2 shown]
	s_waitcnt vmcnt(0)
	v_and_b32_e32 v14, 0x7fff, v18
	v_cmp_ne_u16_e32 vcc, 0, v14
	v_cndmask_b32_e64 v14, 0, 1, vcc
	v_add_co_u32_e32 v14, vcc, v6, v14
	v_addc_co_u32_e32 v15, vcc, 0, v7, vcc
	s_cbranch_execz .LBB24_130
	s_branch .LBB24_131
.LBB24_129:
                                        ; implicit-def: $vgpr8_vgpr9_vgpr10_vgpr11_vgpr12_vgpr13_vgpr14_vgpr15
.LBB24_130:
	v_mul_lo_u32 v10, v17, s18
	v_mul_lo_u32 v11, v16, s19
	v_mad_u64_u32 v[8:9], s[0:1], v16, s18, 0
	v_add3_u32 v9, v9, v11, v10
	v_lshlrev_b64 v[8:9], 1, v[8:9]
	v_add_co_u32_e32 v8, vcc, v22, v8
	v_addc_co_u32_e32 v9, vcc, v23, v9, vcc
	global_load_ushort v8, v[8:9], off offset:384
	s_waitcnt vmcnt(0)
	v_and_b32_e32 v8, 0x7fff, v8
	v_cmp_ne_u16_e32 vcc, 0, v8
	v_cndmask_b32_e64 v8, 0, 1, vcc
	v_add_co_u32_e32 v6, vcc, v6, v8
	v_addc_co_u32_e32 v7, vcc, 0, v7, vcc
	v_mov_b32_e32 v15, v7
	v_mov_b32_e32 v14, v6
	;; [unrolled: 1-line block ×8, first 2 shown]
.LBB24_131:
	v_mov_b32_e32 v0, v8
	v_mov_b32_e32 v1, v9
	;; [unrolled: 1-line block ×8, first 2 shown]
.LBB24_132:
	s_or_b64 exec, exec, s[2:3]
.LBB24_133:
	s_or_b64 exec, exec, s[4:5]
.LBB24_134:
	v_lshlrev_b32_e32 v8, 5, v28
	v_lshlrev_b32_e32 v9, 3, v29
	s_movk_i32 s0, 0xf800
	v_and_or_b32 v8, v8, s0, v9
	s_movk_i32 s0, 0x100
	v_cmp_gt_u32_e32 vcc, s0, v28
	ds_write2st64_b64 v8, v[0:1], v[2:3] offset1:1
	ds_write2st64_b64 v8, v[4:5], v[6:7] offset0:2 offset1:3
	s_waitcnt lgkmcnt(0)
	s_barrier
	s_and_saveexec_b64 s[0:1], vcc
	s_cbranch_execz .LBB24_137
; %bb.135:
	v_lshlrev_b32_e32 v10, 3, v28
	ds_read2st64_b64 v[2:5], v10 offset1:4
	ds_read2st64_b64 v[6:9], v10 offset0:8 offset1:12
	v_add_co_u32_e32 v0, vcc, s33, v28
	v_addc_co_u32_e64 v1, s[0:1], 0, 0, vcc
	s_waitcnt lgkmcnt(1)
	v_add_co_u32_e32 v2, vcc, v2, v4
	v_addc_co_u32_e32 v3, vcc, v3, v5, vcc
	s_waitcnt lgkmcnt(0)
	v_add_co_u32_e32 v6, vcc, v2, v6
	v_addc_co_u32_e32 v7, vcc, v3, v7, vcc
	ds_read2st64_b64 v[2:5], v10 offset0:16 offset1:20
	v_add_co_u32_e32 v6, vcc, v6, v8
	v_addc_co_u32_e32 v7, vcc, v7, v9, vcc
	s_waitcnt lgkmcnt(0)
	v_add_co_u32_e32 v2, vcc, v6, v2
	v_addc_co_u32_e32 v3, vcc, v7, v3, vcc
	ds_read2st64_b64 v[6:9], v10 offset0:24 offset1:28
	;; [unrolled: 6-line block ×6, first 2 shown]
	v_add_co_u32_e32 v2, vcc, v2, v4
	v_addc_co_u32_e32 v3, vcc, v3, v5, vcc
	s_waitcnt lgkmcnt(0)
	v_add_co_u32_e32 v2, vcc, v2, v6
	v_addc_co_u32_e32 v3, vcc, v3, v7, vcc
	v_add_co_u32_e32 v2, vcc, v2, v8
	v_addc_co_u32_e32 v3, vcc, v3, v9, vcc
	v_cmp_gt_i64_e32 vcc, s[12:13], v[0:1]
	ds_write_b64 v10, v[2:3]
	s_and_b64 exec, exec, vcc
	s_cbranch_execz .LBB24_137
; %bb.136:
	v_lshlrev_b64 v[0:1], 3, v[0:1]
	v_mov_b32_e32 v4, s21
	v_add_co_u32_e32 v0, vcc, s20, v0
	v_addc_co_u32_e32 v1, vcc, v4, v1, vcc
	global_store_dwordx2 v[0:1], v[2:3], off
.LBB24_137:
	s_endpgm
	.section	.rodata,"a",@progbits
	.p2align	6, 0x0
	.amdhsa_kernel _ZN9rocsparseL14nnz_kernel_rowILi64ELi16Ell18rocsparse_bfloat16EEv16rocsparse_order_T2_S3_PKT3_lPT1_
		.amdhsa_group_segment_fixed_size 32768
		.amdhsa_private_segment_fixed_size 0
		.amdhsa_kernarg_size 304
		.amdhsa_user_sgpr_count 6
		.amdhsa_user_sgpr_private_segment_buffer 1
		.amdhsa_user_sgpr_dispatch_ptr 0
		.amdhsa_user_sgpr_queue_ptr 0
		.amdhsa_user_sgpr_kernarg_segment_ptr 1
		.amdhsa_user_sgpr_dispatch_id 0
		.amdhsa_user_sgpr_flat_scratch_init 0
		.amdhsa_user_sgpr_private_segment_size 0
		.amdhsa_uses_dynamic_stack 0
		.amdhsa_system_sgpr_private_segment_wavefront_offset 0
		.amdhsa_system_sgpr_workgroup_id_x 1
		.amdhsa_system_sgpr_workgroup_id_y 0
		.amdhsa_system_sgpr_workgroup_id_z 0
		.amdhsa_system_sgpr_workgroup_info 0
		.amdhsa_system_vgpr_workitem_id 1
		.amdhsa_next_free_vgpr 39
		.amdhsa_next_free_sgpr 61
		.amdhsa_reserve_vcc 1
		.amdhsa_reserve_flat_scratch 0
		.amdhsa_float_round_mode_32 0
		.amdhsa_float_round_mode_16_64 0
		.amdhsa_float_denorm_mode_32 3
		.amdhsa_float_denorm_mode_16_64 3
		.amdhsa_dx10_clamp 1
		.amdhsa_ieee_mode 1
		.amdhsa_fp16_overflow 0
		.amdhsa_exception_fp_ieee_invalid_op 0
		.amdhsa_exception_fp_denorm_src 0
		.amdhsa_exception_fp_ieee_div_zero 0
		.amdhsa_exception_fp_ieee_overflow 0
		.amdhsa_exception_fp_ieee_underflow 0
		.amdhsa_exception_fp_ieee_inexact 0
		.amdhsa_exception_int_div_zero 0
	.end_amdhsa_kernel
	.section	.text._ZN9rocsparseL14nnz_kernel_rowILi64ELi16Ell18rocsparse_bfloat16EEv16rocsparse_order_T2_S3_PKT3_lPT1_,"axG",@progbits,_ZN9rocsparseL14nnz_kernel_rowILi64ELi16Ell18rocsparse_bfloat16EEv16rocsparse_order_T2_S3_PKT3_lPT1_,comdat
.Lfunc_end24:
	.size	_ZN9rocsparseL14nnz_kernel_rowILi64ELi16Ell18rocsparse_bfloat16EEv16rocsparse_order_T2_S3_PKT3_lPT1_, .Lfunc_end24-_ZN9rocsparseL14nnz_kernel_rowILi64ELi16Ell18rocsparse_bfloat16EEv16rocsparse_order_T2_S3_PKT3_lPT1_
                                        ; -- End function
	.set _ZN9rocsparseL14nnz_kernel_rowILi64ELi16Ell18rocsparse_bfloat16EEv16rocsparse_order_T2_S3_PKT3_lPT1_.num_vgpr, 39
	.set _ZN9rocsparseL14nnz_kernel_rowILi64ELi16Ell18rocsparse_bfloat16EEv16rocsparse_order_T2_S3_PKT3_lPT1_.num_agpr, 0
	.set _ZN9rocsparseL14nnz_kernel_rowILi64ELi16Ell18rocsparse_bfloat16EEv16rocsparse_order_T2_S3_PKT3_lPT1_.numbered_sgpr, 40
	.set _ZN9rocsparseL14nnz_kernel_rowILi64ELi16Ell18rocsparse_bfloat16EEv16rocsparse_order_T2_S3_PKT3_lPT1_.num_named_barrier, 0
	.set _ZN9rocsparseL14nnz_kernel_rowILi64ELi16Ell18rocsparse_bfloat16EEv16rocsparse_order_T2_S3_PKT3_lPT1_.private_seg_size, 0
	.set _ZN9rocsparseL14nnz_kernel_rowILi64ELi16Ell18rocsparse_bfloat16EEv16rocsparse_order_T2_S3_PKT3_lPT1_.uses_vcc, 1
	.set _ZN9rocsparseL14nnz_kernel_rowILi64ELi16Ell18rocsparse_bfloat16EEv16rocsparse_order_T2_S3_PKT3_lPT1_.uses_flat_scratch, 0
	.set _ZN9rocsparseL14nnz_kernel_rowILi64ELi16Ell18rocsparse_bfloat16EEv16rocsparse_order_T2_S3_PKT3_lPT1_.has_dyn_sized_stack, 0
	.set _ZN9rocsparseL14nnz_kernel_rowILi64ELi16Ell18rocsparse_bfloat16EEv16rocsparse_order_T2_S3_PKT3_lPT1_.has_recursion, 0
	.set _ZN9rocsparseL14nnz_kernel_rowILi64ELi16Ell18rocsparse_bfloat16EEv16rocsparse_order_T2_S3_PKT3_lPT1_.has_indirect_call, 0
	.section	.AMDGPU.csdata,"",@progbits
; Kernel info:
; codeLenInByte = 7780
; TotalNumSgprs: 44
; NumVgprs: 39
; ScratchSize: 0
; MemoryBound: 0
; FloatMode: 240
; IeeeMode: 1
; LDSByteSize: 32768 bytes/workgroup (compile time only)
; SGPRBlocks: 8
; VGPRBlocks: 9
; NumSGPRsForWavesPerEU: 65
; NumVGPRsForWavesPerEU: 39
; Occupancy: 6
; WaveLimiterHint : 0
; COMPUTE_PGM_RSRC2:SCRATCH_EN: 0
; COMPUTE_PGM_RSRC2:USER_SGPR: 6
; COMPUTE_PGM_RSRC2:TRAP_HANDLER: 0
; COMPUTE_PGM_RSRC2:TGID_X_EN: 1
; COMPUTE_PGM_RSRC2:TGID_Y_EN: 0
; COMPUTE_PGM_RSRC2:TGID_Z_EN: 0
; COMPUTE_PGM_RSRC2:TIDIG_COMP_CNT: 1
	.section	.text._ZN9rocsparseL14nnz_kernel_colILi256Ell18rocsparse_bfloat16EEv16rocsparse_order_T1_S3_PKT2_lPT0_,"axG",@progbits,_ZN9rocsparseL14nnz_kernel_colILi256Ell18rocsparse_bfloat16EEv16rocsparse_order_T1_S3_PKT2_lPT0_,comdat
	.globl	_ZN9rocsparseL14nnz_kernel_colILi256Ell18rocsparse_bfloat16EEv16rocsparse_order_T1_S3_PKT2_lPT0_ ; -- Begin function _ZN9rocsparseL14nnz_kernel_colILi256Ell18rocsparse_bfloat16EEv16rocsparse_order_T1_S3_PKT2_lPT0_
	.p2align	8
	.type	_ZN9rocsparseL14nnz_kernel_colILi256Ell18rocsparse_bfloat16EEv16rocsparse_order_T1_S3_PKT2_lPT0_,@function
_ZN9rocsparseL14nnz_kernel_colILi256Ell18rocsparse_bfloat16EEv16rocsparse_order_T1_S3_PKT2_lPT0_: ; @_ZN9rocsparseL14nnz_kernel_colILi256Ell18rocsparse_bfloat16EEv16rocsparse_order_T1_S3_PKT2_lPT0_
; %bb.0:
	s_load_dwordx2 s[12:13], s[4:5], 0x8
	s_load_dword s0, s[4:5], 0x0
	s_load_dwordx4 s[8:11], s[4:5], 0x18
	s_mov_b32 s7, 0
	v_mov_b32_e32 v1, 0
	s_waitcnt lgkmcnt(0)
	s_ashr_i32 s1, s13, 31
	s_lshr_b32 s1, s1, 24
	s_add_u32 s1, s12, s1
	s_addc_u32 s15, s13, 0
	s_and_b32 s14, s1, 0xffffff00
	s_cmp_eq_u32 s0, 1
	s_cbranch_scc1 .LBB25_6
; %bb.1:
	v_mov_b32_e32 v2, 0x100
	v_mov_b32_e32 v3, 0
	v_cmp_lt_i64_e32 vcc, s[12:13], v[2:3]
	v_mov_b32_e32 v2, 0
	v_mov_b32_e32 v3, 0
	s_cbranch_vccnz .LBB25_7
; %bb.2:
	v_mad_u64_u32 v[2:3], s[0:1], s10, v0, 0
	s_lshl_b64 s[0:1], s[6:7], 1
	s_add_u32 s0, s8, s0
	v_mad_u64_u32 v[3:4], s[2:3], s11, v0, v[3:4]
	s_addc_u32 s1, s9, s1
	v_mov_b32_e32 v5, s1
	v_lshlrev_b64 v[2:3], 1, v[2:3]
	s_lshl_b64 s[2:3], s[10:11], 9
	v_add_co_u32_e32 v4, vcc, s0, v2
	v_addc_co_u32_e32 v5, vcc, v5, v3, vcc
	v_mov_b32_e32 v2, 0
	v_mov_b32_e32 v6, s14
	;; [unrolled: 1-line block ×3, first 2 shown]
	s_mov_b64 s[16:17], 0
	v_mov_b32_e32 v8, s3
	v_mov_b32_e32 v7, s15
	s_branch .LBB25_4
.LBB25_3:                               ;   in Loop: Header=BB25_4 Depth=1
	s_or_b64 exec, exec, s[0:1]
	s_add_u32 s16, s16, 0x100
	s_addc_u32 s17, s17, 0
	v_cmp_ge_i64_e32 vcc, s[16:17], v[6:7]
	v_add_co_u32_e64 v4, s[0:1], s2, v4
	v_addc_co_u32_e64 v5, s[0:1], v5, v8, s[0:1]
	s_cbranch_vccnz .LBB25_7
.LBB25_4:                               ; =>This Inner Loop Header: Depth=1
	v_mov_b32_e32 v10, s17
	v_add_co_u32_e32 v9, vcc, s16, v0
	v_addc_co_u32_e32 v10, vcc, 0, v10, vcc
	v_cmp_gt_i64_e32 vcc, s[12:13], v[9:10]
	s_and_saveexec_b64 s[0:1], vcc
	s_cbranch_execz .LBB25_3
; %bb.5:                                ;   in Loop: Header=BB25_4 Depth=1
	global_load_ushort v9, v[4:5], off
	s_waitcnt vmcnt(0)
	v_and_b32_e32 v9, 0x7fff, v9
	v_cmp_ne_u16_e32 vcc, 0, v9
	v_cndmask_b32_e64 v9, 0, 1, vcc
	v_add_co_u32_e32 v2, vcc, v2, v9
	v_addc_co_u32_e32 v3, vcc, 0, v3, vcc
	s_branch .LBB25_3
.LBB25_6:
                                        ; implicit-def: $vgpr2_vgpr3
	s_load_dwordx2 s[2:3], s[4:5], 0x28
	s_cbranch_execnz .LBB25_10
	s_branch .LBB25_16
.LBB25_7:
	v_mov_b32_e32 v5, s15
	v_add_co_u32_e32 v4, vcc, s14, v0
	v_addc_co_u32_e32 v5, vcc, 0, v5, vcc
	v_cmp_gt_i64_e32 vcc, s[12:13], v[4:5]
	s_and_saveexec_b64 s[0:1], vcc
	s_cbranch_execz .LBB25_9
; %bb.8:
	v_mul_lo_u32 v6, v5, s10
	v_mul_lo_u32 v7, v4, s11
	v_mad_u64_u32 v[4:5], s[2:3], v4, s10, 0
	s_lshl_b64 s[2:3], s[6:7], 1
	v_add3_u32 v5, v5, v7, v6
	v_lshlrev_b64 v[4:5], 1, v[4:5]
	v_mov_b32_e32 v6, s9
	v_add_co_u32_e32 v4, vcc, s8, v4
	v_addc_co_u32_e32 v5, vcc, v6, v5, vcc
	v_mov_b32_e32 v6, s3
	v_add_co_u32_e32 v4, vcc, s2, v4
	v_addc_co_u32_e32 v5, vcc, v5, v6, vcc
	global_load_ushort v4, v[4:5], off
	s_waitcnt vmcnt(0)
	v_and_b32_e32 v4, 0x7fff, v4
	v_cmp_ne_u16_e32 vcc, 0, v4
	v_cndmask_b32_e64 v4, 0, 1, vcc
	v_add_co_u32_e32 v2, vcc, v2, v4
	v_addc_co_u32_e32 v3, vcc, 0, v3, vcc
.LBB25_9:
	s_or_b64 exec, exec, s[0:1]
	s_load_dwordx2 s[2:3], s[4:5], 0x28
	s_branch .LBB25_16
.LBB25_10:
	s_mul_i32 s0, s11, s6
	s_mul_hi_u32 s1, s10, s6
	s_add_i32 s1, s1, s0
	s_mul_i32 s0, s10, s6
	v_cmp_gt_i64_e32 vcc, s[12:13], v[0:1]
	s_lshl_b64 s[0:1], s[0:1], 1
	s_add_u32 s0, s8, s0
	v_cndmask_b32_e32 v1, 0, v0, vcc
	s_addc_u32 s1, s9, s1
	v_lshlrev_b32_e32 v3, 1, v1
	v_mov_b32_e32 v5, s1
	v_mov_b32_e32 v1, 0x100
	v_add_co_u32_e32 v4, vcc, s0, v3
	v_mov_b32_e32 v2, 0
	v_addc_co_u32_e32 v5, vcc, 0, v5, vcc
	v_cmp_lt_i64_e32 vcc, s[12:13], v[1:2]
	v_mov_b32_e32 v2, 0
	v_mov_b32_e32 v3, 0
	s_cbranch_vccnz .LBB25_13
; %bb.11:
	v_mov_b32_e32 v2, 0
	v_mov_b32_e32 v6, s14
	v_mov_b32_e32 v9, v5
	v_mov_b32_e32 v3, 0
	s_mov_b64 s[4:5], 0
	v_mov_b32_e32 v7, s15
	v_mov_b32_e32 v8, v4
.LBB25_12:                              ; =>This Inner Loop Header: Depth=1
	global_load_ushort v1, v[8:9], off
	s_add_u32 s4, s4, 0x100
	v_add_co_u32_e32 v8, vcc, 0x200, v8
	s_addc_u32 s5, s5, 0
	v_addc_co_u32_e32 v9, vcc, 0, v9, vcc
	v_cmp_ge_i64_e32 vcc, s[4:5], v[6:7]
	s_and_b64 vcc, exec, vcc
	s_waitcnt vmcnt(0)
	v_and_b32_e32 v1, 0x7fff, v1
	v_cmp_ne_u16_e64 s[0:1], 0, v1
	v_cndmask_b32_e64 v1, 0, 1, s[0:1]
	v_add_co_u32_e64 v2, s[0:1], v2, v1
	v_addc_co_u32_e64 v3, s[0:1], 0, v3, s[0:1]
	s_cbranch_vccz .LBB25_12
.LBB25_13:
	v_mov_b32_e32 v1, s15
	v_add_co_u32_e32 v6, vcc, s14, v0
	v_addc_co_u32_e32 v7, vcc, 0, v1, vcc
	v_cmp_gt_i64_e32 vcc, s[12:13], v[6:7]
	s_and_saveexec_b64 s[0:1], vcc
	s_cbranch_execz .LBB25_15
; %bb.14:
	s_lshl_b64 s[4:5], s[14:15], 1
	v_mov_b32_e32 v1, s5
	v_add_co_u32_e32 v4, vcc, s4, v4
	v_addc_co_u32_e32 v5, vcc, v5, v1, vcc
	global_load_ushort v1, v[4:5], off
	s_waitcnt vmcnt(0)
	v_and_b32_e32 v1, 0x7fff, v1
	v_cmp_ne_u16_e32 vcc, 0, v1
	v_cndmask_b32_e64 v1, 0, 1, vcc
	v_add_co_u32_e32 v2, vcc, v2, v1
	v_addc_co_u32_e32 v3, vcc, 0, v3, vcc
.LBB25_15:
	s_or_b64 exec, exec, s[0:1]
.LBB25_16:
	v_mov_b32_e32 v5, 0x100
	v_mov_b32_e32 v6, 0
	v_cmp_lt_i64_e32 vcc, s[12:13], v[5:6]
	v_lshlrev_b32_e32 v4, 3, v0
	s_mov_b64 s[4:5], -1
	v_cmp_eq_u32_e64 s[0:1], 0, v0
	ds_write_b64 v4, v[2:3]
	s_waitcnt lgkmcnt(0)
	s_cbranch_vccnz .LBB25_20
; %bb.17:
	s_and_b64 vcc, exec, s[4:5]
	s_cbranch_vccnz .LBB25_29
.LBB25_18:
	v_cmp_eq_u32_e32 vcc, 0, v0
	s_and_saveexec_b64 s[0:1], vcc
	s_cbranch_execnz .LBB25_46
.LBB25_19:
	s_endpgm
.LBB25_20:
	v_cmp_gt_i64_e64 s[4:5], s[12:13], 1
	s_mov_b64 s[8:9], 1
	s_and_b64 s[4:5], s[0:1], s[4:5]
	s_barrier
	s_and_saveexec_b64 s[0:1], s[4:5]
	s_cbranch_execz .LBB25_28
; %bb.21:
	s_add_u32 s9, s12, -1
	v_mov_b32_e32 v1, 0
	s_addc_u32 s5, s13, -1
	ds_read_b64 v[1:2], v1
	s_add_u32 s10, s12, -2
	s_addc_u32 s11, s13, -1
	v_cmp_lt_u64_e64 s[10:11], s[10:11], 7
	s_and_b64 vcc, exec, s[10:11]
	s_cbranch_vccnz .LBB25_24
; %bb.22:
	s_and_b32 s4, s9, -8
	s_mov_b64 s[10:11], 0
	s_mov_b32 s12, 8
.LBB25_23:                              ; =>This Inner Loop Header: Depth=1
	v_mov_b32_e32 v3, s12
	ds_read2_b64 v[5:8], v3 offset1:1
	ds_read2_b64 v[9:12], v3 offset0:2 offset1:3
	ds_read2_b64 v[13:16], v3 offset0:4 offset1:5
	ds_read2_b64 v[17:20], v3 offset0:6 offset1:7
	s_add_u32 s14, s10, 8
	s_waitcnt lgkmcnt(3)
	v_add_co_u32_e32 v1, vcc, v1, v5
	v_addc_co_u32_e32 v2, vcc, v2, v6, vcc
	v_add_co_u32_e32 v1, vcc, v1, v7
	v_addc_co_u32_e32 v2, vcc, v2, v8, vcc
	s_waitcnt lgkmcnt(2)
	v_add_co_u32_e32 v1, vcc, v1, v9
	v_addc_co_u32_e32 v2, vcc, v2, v10, vcc
	v_add_co_u32_e32 v1, vcc, v1, v11
	v_addc_co_u32_e32 v2, vcc, v2, v12, vcc
	;; [unrolled: 5-line block ×3, first 2 shown]
	s_waitcnt lgkmcnt(0)
	v_add_co_u32_e32 v1, vcc, v1, v17
	v_addc_co_u32_e32 v2, vcc, v2, v18, vcc
	s_addc_u32 s15, s11, 0
	s_add_i32 s12, s12, 64
	s_add_u32 s8, s10, 9
	v_add_co_u32_e32 v1, vcc, v1, v19
	s_cmp_lg_u64 s[4:5], s[14:15]
	s_mov_b64 s[10:11], s[14:15]
	v_addc_co_u32_e32 v2, vcc, v2, v20, vcc
	s_cbranch_scc1 .LBB25_23
.LBB25_24:
	s_and_b32 s4, s9, 7
	s_mov_b32 s5, 0
	s_cmp_eq_u64 s[4:5], 0
	s_cbranch_scc1 .LBB25_27
; %bb.25:
	s_lshl_b32 s8, s8, 3
.LBB25_26:                              ; =>This Inner Loop Header: Depth=1
	v_mov_b32_e32 v3, s8
	ds_read_b64 v[5:6], v3
	s_add_i32 s8, s8, 8
	s_add_u32 s4, s4, -1
	s_addc_u32 s5, s5, -1
	s_cmp_lg_u64 s[4:5], 0
	s_waitcnt lgkmcnt(0)
	v_add_co_u32_e32 v1, vcc, v1, v5
	v_addc_co_u32_e32 v2, vcc, v2, v6, vcc
	s_cbranch_scc1 .LBB25_26
.LBB25_27:
	v_mov_b32_e32 v3, 0
	s_waitcnt lgkmcnt(0)
	ds_write_b64 v3, v[1:2]
.LBB25_28:
	s_or_b64 exec, exec, s[0:1]
	s_waitcnt lgkmcnt(0)
	s_barrier
	s_branch .LBB25_18
.LBB25_29:
	s_movk_i32 s0, 0x80
	v_cmp_gt_u32_e32 vcc, s0, v0
	s_barrier
	s_and_saveexec_b64 s[0:1], vcc
	s_cbranch_execz .LBB25_31
; %bb.30:
	ds_read2st64_b64 v[5:8], v4 offset1:2
	s_waitcnt lgkmcnt(0)
	v_add_co_u32_e32 v1, vcc, v5, v7
	v_addc_co_u32_e32 v2, vcc, v6, v8, vcc
	ds_write_b64 v4, v[1:2]
.LBB25_31:
	s_or_b64 exec, exec, s[0:1]
	v_cmp_gt_u32_e32 vcc, 64, v0
	s_waitcnt lgkmcnt(0)
	s_barrier
	s_and_saveexec_b64 s[0:1], vcc
	s_cbranch_execz .LBB25_33
; %bb.32:
	ds_read2st64_b64 v[5:8], v4 offset1:1
	s_waitcnt lgkmcnt(0)
	v_add_co_u32_e32 v1, vcc, v5, v7
	v_addc_co_u32_e32 v2, vcc, v6, v8, vcc
	ds_write_b64 v4, v[1:2]
.LBB25_33:
	s_or_b64 exec, exec, s[0:1]
	v_cmp_gt_u32_e32 vcc, 32, v0
	s_waitcnt lgkmcnt(0)
	s_barrier
	s_and_saveexec_b64 s[0:1], vcc
	s_cbranch_execz .LBB25_35
; %bb.34:
	ds_read2_b64 v[5:8], v4 offset1:32
	s_waitcnt lgkmcnt(0)
	v_add_co_u32_e32 v1, vcc, v5, v7
	v_addc_co_u32_e32 v2, vcc, v6, v8, vcc
	ds_write_b64 v4, v[1:2]
.LBB25_35:
	s_or_b64 exec, exec, s[0:1]
	v_cmp_gt_u32_e32 vcc, 16, v0
	s_waitcnt lgkmcnt(0)
	s_barrier
	s_and_saveexec_b64 s[0:1], vcc
	s_cbranch_execz .LBB25_37
; %bb.36:
	ds_read2_b64 v[5:8], v4 offset1:16
	s_waitcnt lgkmcnt(0)
	v_add_co_u32_e32 v1, vcc, v5, v7
	v_addc_co_u32_e32 v2, vcc, v6, v8, vcc
	ds_write_b64 v4, v[1:2]
.LBB25_37:
	;; [unrolled: 13-line block ×5, first 2 shown]
	s_or_b64 exec, exec, s[0:1]
	v_cmp_eq_u32_e32 vcc, 0, v0
	s_waitcnt lgkmcnt(0)
	s_barrier
	s_and_saveexec_b64 s[0:1], vcc
	s_cbranch_execz .LBB25_45
; %bb.44:
	v_mov_b32_e32 v5, 0
	ds_read_b128 v[1:4], v5
	s_waitcnt lgkmcnt(0)
	v_add_co_u32_e32 v1, vcc, v1, v3
	v_addc_co_u32_e32 v2, vcc, v2, v4, vcc
	ds_write_b64 v5, v[1:2]
.LBB25_45:
	s_or_b64 exec, exec, s[0:1]
	s_waitcnt lgkmcnt(0)
	s_barrier
	v_cmp_eq_u32_e32 vcc, 0, v0
	s_and_saveexec_b64 s[0:1], vcc
	s_cbranch_execz .LBB25_19
.LBB25_46:
	v_mov_b32_e32 v2, 0
	ds_read_b64 v[0:1], v2
	s_lshl_b64 s[0:1], s[6:7], 3
	s_add_u32 s0, s2, s0
	s_addc_u32 s1, s3, s1
	s_waitcnt lgkmcnt(0)
	global_store_dwordx2 v2, v[0:1], s[0:1]
	s_endpgm
	.section	.rodata,"a",@progbits
	.p2align	6, 0x0
	.amdhsa_kernel _ZN9rocsparseL14nnz_kernel_colILi256Ell18rocsparse_bfloat16EEv16rocsparse_order_T1_S3_PKT2_lPT0_
		.amdhsa_group_segment_fixed_size 2048
		.amdhsa_private_segment_fixed_size 0
		.amdhsa_kernarg_size 48
		.amdhsa_user_sgpr_count 6
		.amdhsa_user_sgpr_private_segment_buffer 1
		.amdhsa_user_sgpr_dispatch_ptr 0
		.amdhsa_user_sgpr_queue_ptr 0
		.amdhsa_user_sgpr_kernarg_segment_ptr 1
		.amdhsa_user_sgpr_dispatch_id 0
		.amdhsa_user_sgpr_flat_scratch_init 0
		.amdhsa_user_sgpr_private_segment_size 0
		.amdhsa_uses_dynamic_stack 0
		.amdhsa_system_sgpr_private_segment_wavefront_offset 0
		.amdhsa_system_sgpr_workgroup_id_x 1
		.amdhsa_system_sgpr_workgroup_id_y 0
		.amdhsa_system_sgpr_workgroup_id_z 0
		.amdhsa_system_sgpr_workgroup_info 0
		.amdhsa_system_vgpr_workitem_id 0
		.amdhsa_next_free_vgpr 21
		.amdhsa_next_free_sgpr 18
		.amdhsa_reserve_vcc 1
		.amdhsa_reserve_flat_scratch 0
		.amdhsa_float_round_mode_32 0
		.amdhsa_float_round_mode_16_64 0
		.amdhsa_float_denorm_mode_32 3
		.amdhsa_float_denorm_mode_16_64 3
		.amdhsa_dx10_clamp 1
		.amdhsa_ieee_mode 1
		.amdhsa_fp16_overflow 0
		.amdhsa_exception_fp_ieee_invalid_op 0
		.amdhsa_exception_fp_denorm_src 0
		.amdhsa_exception_fp_ieee_div_zero 0
		.amdhsa_exception_fp_ieee_overflow 0
		.amdhsa_exception_fp_ieee_underflow 0
		.amdhsa_exception_fp_ieee_inexact 0
		.amdhsa_exception_int_div_zero 0
	.end_amdhsa_kernel
	.section	.text._ZN9rocsparseL14nnz_kernel_colILi256Ell18rocsparse_bfloat16EEv16rocsparse_order_T1_S3_PKT2_lPT0_,"axG",@progbits,_ZN9rocsparseL14nnz_kernel_colILi256Ell18rocsparse_bfloat16EEv16rocsparse_order_T1_S3_PKT2_lPT0_,comdat
.Lfunc_end25:
	.size	_ZN9rocsparseL14nnz_kernel_colILi256Ell18rocsparse_bfloat16EEv16rocsparse_order_T1_S3_PKT2_lPT0_, .Lfunc_end25-_ZN9rocsparseL14nnz_kernel_colILi256Ell18rocsparse_bfloat16EEv16rocsparse_order_T1_S3_PKT2_lPT0_
                                        ; -- End function
	.set _ZN9rocsparseL14nnz_kernel_colILi256Ell18rocsparse_bfloat16EEv16rocsparse_order_T1_S3_PKT2_lPT0_.num_vgpr, 21
	.set _ZN9rocsparseL14nnz_kernel_colILi256Ell18rocsparse_bfloat16EEv16rocsparse_order_T1_S3_PKT2_lPT0_.num_agpr, 0
	.set _ZN9rocsparseL14nnz_kernel_colILi256Ell18rocsparse_bfloat16EEv16rocsparse_order_T1_S3_PKT2_lPT0_.numbered_sgpr, 18
	.set _ZN9rocsparseL14nnz_kernel_colILi256Ell18rocsparse_bfloat16EEv16rocsparse_order_T1_S3_PKT2_lPT0_.num_named_barrier, 0
	.set _ZN9rocsparseL14nnz_kernel_colILi256Ell18rocsparse_bfloat16EEv16rocsparse_order_T1_S3_PKT2_lPT0_.private_seg_size, 0
	.set _ZN9rocsparseL14nnz_kernel_colILi256Ell18rocsparse_bfloat16EEv16rocsparse_order_T1_S3_PKT2_lPT0_.uses_vcc, 1
	.set _ZN9rocsparseL14nnz_kernel_colILi256Ell18rocsparse_bfloat16EEv16rocsparse_order_T1_S3_PKT2_lPT0_.uses_flat_scratch, 0
	.set _ZN9rocsparseL14nnz_kernel_colILi256Ell18rocsparse_bfloat16EEv16rocsparse_order_T1_S3_PKT2_lPT0_.has_dyn_sized_stack, 0
	.set _ZN9rocsparseL14nnz_kernel_colILi256Ell18rocsparse_bfloat16EEv16rocsparse_order_T1_S3_PKT2_lPT0_.has_recursion, 0
	.set _ZN9rocsparseL14nnz_kernel_colILi256Ell18rocsparse_bfloat16EEv16rocsparse_order_T1_S3_PKT2_lPT0_.has_indirect_call, 0
	.section	.AMDGPU.csdata,"",@progbits
; Kernel info:
; codeLenInByte = 1604
; TotalNumSgprs: 22
; NumVgprs: 21
; ScratchSize: 0
; MemoryBound: 0
; FloatMode: 240
; IeeeMode: 1
; LDSByteSize: 2048 bytes/workgroup (compile time only)
; SGPRBlocks: 2
; VGPRBlocks: 5
; NumSGPRsForWavesPerEU: 22
; NumVGPRsForWavesPerEU: 21
; Occupancy: 10
; WaveLimiterHint : 0
; COMPUTE_PGM_RSRC2:SCRATCH_EN: 0
; COMPUTE_PGM_RSRC2:USER_SGPR: 6
; COMPUTE_PGM_RSRC2:TRAP_HANDLER: 0
; COMPUTE_PGM_RSRC2:TGID_X_EN: 1
; COMPUTE_PGM_RSRC2:TGID_Y_EN: 0
; COMPUTE_PGM_RSRC2:TGID_Z_EN: 0
; COMPUTE_PGM_RSRC2:TIDIG_COMP_CNT: 0
	.section	.text._ZN9rocsparseL14nnz_kernel_rowILi64ELi16EllDF16_EEv16rocsparse_order_T2_S2_PKT3_lPT1_,"axG",@progbits,_ZN9rocsparseL14nnz_kernel_rowILi64ELi16EllDF16_EEv16rocsparse_order_T2_S2_PKT3_lPT1_,comdat
	.globl	_ZN9rocsparseL14nnz_kernel_rowILi64ELi16EllDF16_EEv16rocsparse_order_T2_S2_PKT3_lPT1_ ; -- Begin function _ZN9rocsparseL14nnz_kernel_rowILi64ELi16EllDF16_EEv16rocsparse_order_T2_S2_PKT3_lPT1_
	.p2align	8
	.type	_ZN9rocsparseL14nnz_kernel_rowILi64ELi16EllDF16_EEv16rocsparse_order_T2_S2_PKT3_lPT1_,@function
_ZN9rocsparseL14nnz_kernel_rowILi64ELi16EllDF16_EEv16rocsparse_order_T2_S2_PKT3_lPT1_: ; @_ZN9rocsparseL14nnz_kernel_rowILi64ELi16EllDF16_EEv16rocsparse_order_T2_S2_PKT3_lPT1_
; %bb.0:
	s_load_dword s0, s[4:5], 0x3c
	s_load_dwordx2 s[20:21], s[4:5], 0x28
	s_load_dword s38, s[4:5], 0x0
	s_load_dwordx8 s[12:19], s[4:5], 0x8
	s_lshl_b32 s33, s6, 8
	s_waitcnt lgkmcnt(0)
	s_and_b32 s0, s0, 0xffff
	v_mad_u32_u24 v28, v1, s0, v0
	v_mov_b32_e32 v19, 0
	s_ashr_i32 s0, s15, 31
	s_lshr_b32 s0, s0, 26
	s_add_u32 s0, s14, s0
	v_lshrrev_b32_e32 v0, 4, v28
	v_and_b32_e32 v29, 63, v28
	s_addc_u32 s25, s15, 0
	s_and_b32 s24, s0, 0xffffffc0
	v_and_b32_e32 v16, 0x7ffffc, v0
	v_mov_b32_e32 v17, v19
	v_or_b32_e32 v18, s33, v29
	s_sub_u32 s22, s14, s24
	v_cmp_gt_i64_e32 vcc, s[24:25], v[16:17]
	s_subb_u32 s23, s15, s25
	v_mov_b32_e32 v0, v19
	v_mov_b32_e32 v1, v19
	;; [unrolled: 1-line block ×8, first 2 shown]
	v_or_b32_e32 v20, 64, v18
	s_and_saveexec_b64 s[26:27], vcc
	s_cbranch_execz .LBB26_28
; %bb.1:
	v_or_b32_e32 v0, 0x80, v18
	v_mov_b32_e32 v1, v19
	v_cmp_gt_i64_e64 s[0:1], s[12:13], v[0:1]
	v_add_co_u32_e32 v0, vcc, s33, v29
	v_addc_co_u32_e64 v1, s[2:3], 0, 0, vcc
	v_mul_lo_u32 v6, s19, v0
	v_mul_lo_u32 v7, s18, v1
	v_mad_u64_u32 v[2:3], s[2:3], s18, v0, 0
	v_or_b32_e32 v4, 0xc0, v18
	v_mov_b32_e32 v5, v19
	v_cmp_gt_i64_e64 s[2:3], s[12:13], v[4:5]
	v_add_co_u32_e32 v4, vcc, 64, v0
	v_addc_co_u32_e32 v5, vcc, 0, v1, vcc
	v_add3_u32 v3, v3, v7, v6
	v_mul_lo_u32 v7, s19, v4
	v_mul_lo_u32 v9, s18, v5
	v_mad_u64_u32 v[4:5], s[4:5], s18, v4, 0
	v_lshlrev_b64 v[2:3], 1, v[2:3]
	v_lshrrev_b32_e32 v6, 6, v28
	v_lshlrev_b32_e32 v8, 3, v6
	v_add_co_u32_e32 v26, vcc, v2, v8
	s_movk_i32 s6, 0x80
	v_addc_co_u32_e32 v27, vcc, 0, v3, vcc
	v_add3_u32 v5, v5, v9, v7
	v_lshlrev_b64 v[2:3], 1, v[4:5]
	v_add_co_u32_e32 v4, vcc, s6, v0
	v_addc_co_u32_e32 v5, vcc, 0, v1, vcc
	v_mul_lo_u32 v7, s19, v4
	v_mul_lo_u32 v9, s18, v5
	v_mad_u64_u32 v[4:5], s[4:5], s18, v4, 0
	v_add_co_u32_e32 v30, vcc, v2, v8
	s_movk_i32 s7, 0xc0
	v_addc_co_u32_e32 v31, vcc, 0, v3, vcc
	v_add3_u32 v5, v5, v9, v7
	v_lshlrev_b64 v[2:3], 1, v[4:5]
	v_add_co_u32_e32 v4, vcc, s7, v0
	v_addc_co_u32_e32 v5, vcc, 0, v1, vcc
	v_mul_lo_u32 v7, s19, v4
	v_mul_lo_u32 v9, s18, v5
	v_mad_u64_u32 v[4:5], s[4:5], s18, v4, 0
	v_lshlrev_b64 v[0:1], 1, v[0:1]
	v_or_b32_e32 v10, 6, v8
	v_mad_u64_u32 v[22:23], s[4:5], s18, v10, v[0:1]
	v_add_co_u32_e32 v32, vcc, v2, v8
	v_add3_u32 v5, v5, v9, v7
	v_addc_co_u32_e32 v33, vcc, 0, v3, vcc
	v_lshlrev_b64 v[2:3], 1, v[4:5]
	v_mov_b32_e32 v4, v23
	v_add_co_u32_e32 v34, vcc, v2, v8
	v_or_b32_e32 v7, 4, v8
	v_mad_u64_u32 v[4:5], s[4:5], s19, v10, v[4:5]
	v_addc_co_u32_e32 v35, vcc, 0, v3, vcc
	v_mad_u64_u32 v[2:3], s[4:5], s18, v6, 0
	v_mad_u64_u32 v[23:24], s[4:5], s18, v7, v[0:1]
	;; [unrolled: 1-line block ×3, first 2 shown]
	v_mov_b32_e32 v3, v24
	v_mad_u64_u32 v[6:7], s[4:5], s19, v7, v[3:4]
	v_or_b32_e32 v7, 2, v8
	v_mad_u64_u32 v[24:25], s[4:5], s18, v7, v[0:1]
	v_mov_b32_e32 v36, v4
	v_mov_b32_e32 v3, v5
	;; [unrolled: 1-line block ×3, first 2 shown]
	v_mad_u64_u32 v[4:5], s[4:5], s19, v7, v[4:5]
	v_lshlrev_b64 v[2:3], 3, v[2:3]
	v_mov_b32_e32 v21, v19
	s_cmp_lg_u32 s38, 1
	v_cmp_gt_i64_e64 s[4:5], s[12:13], v[18:19]
	v_cmp_gt_i64_e64 s[6:7], s[12:13], v[20:21]
	v_add_co_u32_e32 v25, vcc, v2, v0
	v_mov_b32_e32 v37, v6
	s_cselect_b64 s[28:29], -1, 0
	s_lshl_b64 s[30:31], s[18:19], 7
	v_mov_b32_e32 v21, v4
	v_addc_co_u32_e32 v38, vcc, v3, v1, vcc
	v_mov_b32_e32 v0, v19
	v_mov_b32_e32 v1, v19
	;; [unrolled: 1-line block ×8, first 2 shown]
	s_mov_b64 s[34:35], 0
	s_branch .LBB26_4
.LBB26_2:                               ;   in Loop: Header=BB26_4 Depth=1
	v_mov_b32_e32 v0, v8
	v_mov_b32_e32 v1, v9
	;; [unrolled: 1-line block ×8, first 2 shown]
.LBB26_3:                               ;   in Loop: Header=BB26_4 Depth=1
	s_or_b64 exec, exec, s[10:11]
	v_add_co_u32_e32 v16, vcc, 64, v16
	v_addc_co_u32_e32 v17, vcc, 0, v17, vcc
	v_add_co_u32_e32 v26, vcc, 0x80, v26
	v_addc_co_u32_e32 v27, vcc, 0, v27, vcc
	;; [unrolled: 2-line block ×5, first 2 shown]
	v_mov_b32_e32 v8, s31
	v_add_co_u32_e32 v22, vcc, s30, v22
	v_addc_co_u32_e32 v36, vcc, v36, v8, vcc
	v_add_co_u32_e32 v23, vcc, s30, v23
	v_addc_co_u32_e32 v37, vcc, v37, v8, vcc
	v_cmp_le_i64_e32 vcc, s[24:25], v[16:17]
	v_add_co_u32_e64 v24, s[8:9], s30, v24
	s_or_b64 s[34:35], vcc, s[34:35]
	v_add_co_u32_e32 v25, vcc, s30, v25
	v_addc_co_u32_e64 v21, s[8:9], v21, v8, s[8:9]
	v_addc_co_u32_e32 v38, vcc, v38, v8, vcc
	s_andn2_b64 exec, exec, s[34:35]
	s_cbranch_execz .LBB26_27
.LBB26_4:                               ; =>This Inner Loop Header: Depth=1
	v_cndmask_b32_e64 v8, 0, 1, s[28:29]
	v_cmp_ne_u32_e64 s[8:9], 1, v8
	s_and_saveexec_b64 s[36:37], s[4:5]
	s_cbranch_execnz .LBB26_8
; %bb.5:                                ;   in Loop: Header=BB26_4 Depth=1
	s_or_b64 exec, exec, s[36:37]
	s_and_saveexec_b64 s[36:37], s[6:7]
	s_cbranch_execnz .LBB26_13
.LBB26_6:                               ;   in Loop: Header=BB26_4 Depth=1
	s_or_b64 exec, exec, s[36:37]
	s_and_saveexec_b64 s[36:37], s[0:1]
	s_cbranch_execnz .LBB26_18
.LBB26_7:                               ;   in Loop: Header=BB26_4 Depth=1
	s_or_b64 exec, exec, s[36:37]
	s_and_saveexec_b64 s[10:11], s[2:3]
	s_cbranch_execz .LBB26_3
	s_branch .LBB26_23
.LBB26_8:                               ;   in Loop: Header=BB26_4 Depth=1
	s_and_b64 vcc, exec, s[8:9]
	s_mov_b64 s[10:11], -1
                                        ; implicit-def: $vgpr8_vgpr9_vgpr10_vgpr11_vgpr12_vgpr13_vgpr14_vgpr15
	s_cbranch_vccnz .LBB26_10
; %bb.9:                                ;   in Loop: Header=BB26_4 Depth=1
	v_add_co_u32_e32 v8, vcc, s16, v26
	v_mov_b32_e32 v9, s17
	v_addc_co_u32_e32 v9, vcc, v9, v27, vcc
	global_load_dwordx2 v[8:9], v[8:9], off
	v_add_co_u32_e64 v10, s[10:11], 1, v0
	v_addc_co_u32_e64 v11, s[10:11], 0, v1, s[10:11]
	v_mov_b32_e32 v13, v5
	v_mov_b32_e32 v14, v6
	;; [unrolled: 1-line block ×3, first 2 shown]
	s_waitcnt vmcnt(0)
	v_cmp_neq_f16_e32 vcc, 0, v8
	v_cndmask_b32_e32 v10, v0, v10, vcc
	v_cndmask_b32_e32 v11, v1, v11, vcc
	v_cmp_neq_f16_sdwa vcc, v8, v19 src0_sel:WORD_1 src1_sel:DWORD
	v_add_co_u32_e64 v8, s[10:11], 1, v10
	v_addc_co_u32_e64 v12, s[10:11], 0, v11, s[10:11]
	v_cndmask_b32_e32 v8, v10, v8, vcc
	v_cndmask_b32_e32 v11, v11, v12, vcc
	v_cmp_neq_f16_e32 vcc, 0, v9
	v_add_co_u32_e64 v10, s[10:11], 1, v8
	v_addc_co_u32_e64 v12, s[10:11], 0, v11, s[10:11]
	v_cndmask_b32_e32 v8, v8, v10, vcc
	v_cndmask_b32_e32 v11, v11, v12, vcc
	v_add_co_u32_e64 v10, s[10:11], 1, v8
	v_cmp_neq_f16_sdwa vcc, v9, v19 src0_sel:WORD_1 src1_sel:DWORD
	v_addc_co_u32_e64 v9, s[10:11], 0, v11, s[10:11]
	v_cndmask_b32_e32 v9, v11, v9, vcc
	v_cndmask_b32_e32 v8, v8, v10, vcc
	v_mov_b32_e32 v10, v2
	v_mov_b32_e32 v11, v3
	;; [unrolled: 1-line block ×3, first 2 shown]
	s_mov_b64 s[10:11], 0
.LBB26_10:                              ;   in Loop: Header=BB26_4 Depth=1
	s_andn2_b64 vcc, exec, s[10:11]
	s_cbranch_vccnz .LBB26_12
; %bb.11:                               ;   in Loop: Header=BB26_4 Depth=1
	v_mov_b32_e32 v9, s17
	v_add_co_u32_e32 v8, vcc, s16, v25
	v_addc_co_u32_e32 v9, vcc, v9, v38, vcc
	global_load_ushort v10, v[8:9], off
	v_mov_b32_e32 v9, s17
	v_add_co_u32_e32 v8, vcc, s16, v24
	v_addc_co_u32_e32 v9, vcc, v9, v21, vcc
	global_load_ushort v11, v[8:9], off
	;; [unrolled: 4-line block ×4, first 2 shown]
	v_add_co_u32_e32 v9, vcc, 1, v0
	v_addc_co_u32_e32 v13, vcc, 0, v1, vcc
	s_waitcnt vmcnt(3)
	v_cmp_neq_f16_e32 vcc, 0, v10
	v_cndmask_b32_e32 v0, v0, v9, vcc
	v_cndmask_b32_e32 v1, v1, v13, vcc
	v_add_co_u32_e32 v9, vcc, 1, v0
	v_addc_co_u32_e32 v10, vcc, 0, v1, vcc
	s_waitcnt vmcnt(2)
	v_cmp_neq_f16_e32 vcc, 0, v11
	v_cndmask_b32_e32 v0, v0, v9, vcc
	v_cndmask_b32_e32 v1, v1, v10, vcc
	;; [unrolled: 6-line block ×4, first 2 shown]
	v_mov_b32_e32 v15, v7
	v_mov_b32_e32 v14, v6
	;; [unrolled: 1-line block ×8, first 2 shown]
.LBB26_12:                              ;   in Loop: Header=BB26_4 Depth=1
	v_mov_b32_e32 v0, v8
	v_mov_b32_e32 v1, v9
	v_mov_b32_e32 v2, v10
	v_mov_b32_e32 v3, v11
	v_mov_b32_e32 v4, v12
	v_mov_b32_e32 v5, v13
	v_mov_b32_e32 v6, v14
	v_mov_b32_e32 v7, v15
	s_or_b64 exec, exec, s[36:37]
	s_and_saveexec_b64 s[36:37], s[6:7]
	s_cbranch_execz .LBB26_6
.LBB26_13:                              ;   in Loop: Header=BB26_4 Depth=1
	s_and_b64 vcc, exec, s[8:9]
	s_mov_b64 s[10:11], -1
                                        ; implicit-def: $vgpr8_vgpr9_vgpr10_vgpr11_vgpr12_vgpr13_vgpr14_vgpr15
	s_cbranch_vccnz .LBB26_15
; %bb.14:                               ;   in Loop: Header=BB26_4 Depth=1
	v_add_co_u32_e32 v8, vcc, s16, v30
	v_mov_b32_e32 v9, s17
	v_addc_co_u32_e32 v9, vcc, v9, v31, vcc
	global_load_dwordx2 v[8:9], v[8:9], off
	v_add_co_u32_e64 v10, s[10:11], 1, v2
	v_addc_co_u32_e64 v11, s[10:11], 0, v3, s[10:11]
	v_mov_b32_e32 v13, v5
	v_mov_b32_e32 v14, v6
	;; [unrolled: 1-line block ×3, first 2 shown]
	s_waitcnt vmcnt(0)
	v_cmp_neq_f16_e32 vcc, 0, v8
	v_cndmask_b32_e32 v10, v2, v10, vcc
	v_cndmask_b32_e32 v11, v3, v11, vcc
	v_cmp_neq_f16_sdwa vcc, v8, v19 src0_sel:WORD_1 src1_sel:DWORD
	v_add_co_u32_e64 v8, s[10:11], 1, v10
	v_addc_co_u32_e64 v12, s[10:11], 0, v11, s[10:11]
	v_cndmask_b32_e32 v8, v10, v8, vcc
	v_cndmask_b32_e32 v11, v11, v12, vcc
	v_cmp_neq_f16_e32 vcc, 0, v9
	v_add_co_u32_e64 v10, s[10:11], 1, v8
	v_addc_co_u32_e64 v12, s[10:11], 0, v11, s[10:11]
	v_cndmask_b32_e32 v8, v8, v10, vcc
	v_cndmask_b32_e32 v11, v11, v12, vcc
	v_cmp_neq_f16_sdwa vcc, v9, v19 src0_sel:WORD_1 src1_sel:DWORD
	v_add_co_u32_e64 v9, s[10:11], 1, v8
	v_addc_co_u32_e64 v10, s[10:11], 0, v11, s[10:11]
	v_cndmask_b32_e32 v11, v11, v10, vcc
	v_cndmask_b32_e32 v10, v8, v9, vcc
	v_mov_b32_e32 v8, v0
	v_mov_b32_e32 v9, v1
	;; [unrolled: 1-line block ×3, first 2 shown]
	s_mov_b64 s[10:11], 0
.LBB26_15:                              ;   in Loop: Header=BB26_4 Depth=1
	s_andn2_b64 vcc, exec, s[10:11]
	s_cbranch_vccnz .LBB26_17
; %bb.16:                               ;   in Loop: Header=BB26_4 Depth=1
	v_mov_b32_e32 v9, s17
	v_add_co_u32_e32 v8, vcc, s16, v25
	v_addc_co_u32_e32 v9, vcc, v9, v38, vcc
	global_load_ushort v10, v[8:9], off offset:128
	v_mov_b32_e32 v9, s17
	v_add_co_u32_e32 v8, vcc, s16, v24
	v_addc_co_u32_e32 v9, vcc, v9, v21, vcc
	global_load_ushort v11, v[8:9], off offset:128
	;; [unrolled: 4-line block ×4, first 2 shown]
	v_add_co_u32_e32 v9, vcc, 1, v2
	v_addc_co_u32_e32 v13, vcc, 0, v3, vcc
	s_waitcnt vmcnt(3)
	v_cmp_neq_f16_e32 vcc, 0, v10
	v_cndmask_b32_e32 v2, v2, v9, vcc
	v_cndmask_b32_e32 v3, v3, v13, vcc
	v_add_co_u32_e32 v9, vcc, 1, v2
	v_addc_co_u32_e32 v10, vcc, 0, v3, vcc
	s_waitcnt vmcnt(2)
	v_cmp_neq_f16_e32 vcc, 0, v11
	v_cndmask_b32_e32 v2, v2, v9, vcc
	v_cndmask_b32_e32 v3, v3, v10, vcc
	;; [unrolled: 6-line block ×4, first 2 shown]
	v_mov_b32_e32 v15, v7
	v_mov_b32_e32 v14, v6
	;; [unrolled: 1-line block ×8, first 2 shown]
.LBB26_17:                              ;   in Loop: Header=BB26_4 Depth=1
	v_mov_b32_e32 v0, v8
	v_mov_b32_e32 v1, v9
	;; [unrolled: 1-line block ×8, first 2 shown]
	s_or_b64 exec, exec, s[36:37]
	s_and_saveexec_b64 s[36:37], s[0:1]
	s_cbranch_execz .LBB26_7
.LBB26_18:                              ;   in Loop: Header=BB26_4 Depth=1
	s_and_b64 vcc, exec, s[8:9]
	s_mov_b64 s[10:11], -1
                                        ; implicit-def: $vgpr8_vgpr9_vgpr10_vgpr11_vgpr12_vgpr13_vgpr14_vgpr15
	s_cbranch_vccnz .LBB26_20
; %bb.19:                               ;   in Loop: Header=BB26_4 Depth=1
	v_add_co_u32_e32 v8, vcc, s16, v32
	v_mov_b32_e32 v9, s17
	v_addc_co_u32_e32 v9, vcc, v9, v33, vcc
	global_load_dwordx2 v[8:9], v[8:9], off
	v_add_co_u32_e64 v10, s[10:11], 1, v4
	v_addc_co_u32_e64 v11, s[10:11], 0, v5, s[10:11]
	v_mov_b32_e32 v14, v6
	v_mov_b32_e32 v15, v7
	s_waitcnt vmcnt(0)
	v_cmp_neq_f16_e32 vcc, 0, v8
	v_cndmask_b32_e32 v10, v4, v10, vcc
	v_cndmask_b32_e32 v11, v5, v11, vcc
	v_cmp_neq_f16_sdwa vcc, v8, v19 src0_sel:WORD_1 src1_sel:DWORD
	v_add_co_u32_e64 v8, s[10:11], 1, v10
	v_addc_co_u32_e64 v12, s[10:11], 0, v11, s[10:11]
	v_cndmask_b32_e32 v8, v10, v8, vcc
	v_cndmask_b32_e32 v11, v11, v12, vcc
	v_cmp_neq_f16_e32 vcc, 0, v9
	v_add_co_u32_e64 v10, s[10:11], 1, v8
	v_addc_co_u32_e64 v12, s[10:11], 0, v11, s[10:11]
	v_cndmask_b32_e32 v8, v8, v10, vcc
	v_cndmask_b32_e32 v11, v11, v12, vcc
	v_cmp_neq_f16_sdwa vcc, v9, v19 src0_sel:WORD_1 src1_sel:DWORD
	v_add_co_u32_e64 v9, s[10:11], 1, v8
	v_addc_co_u32_e64 v10, s[10:11], 0, v11, s[10:11]
	v_cndmask_b32_e32 v13, v11, v10, vcc
	v_cndmask_b32_e32 v12, v8, v9, vcc
	v_mov_b32_e32 v8, v0
	v_mov_b32_e32 v9, v1
	v_mov_b32_e32 v10, v2
	v_mov_b32_e32 v11, v3
	s_mov_b64 s[10:11], 0
.LBB26_20:                              ;   in Loop: Header=BB26_4 Depth=1
	s_andn2_b64 vcc, exec, s[10:11]
	s_cbranch_vccnz .LBB26_22
; %bb.21:                               ;   in Loop: Header=BB26_4 Depth=1
	v_mov_b32_e32 v9, s17
	v_add_co_u32_e32 v8, vcc, s16, v25
	v_addc_co_u32_e32 v9, vcc, v9, v38, vcc
	global_load_ushort v10, v[8:9], off offset:256
	v_mov_b32_e32 v9, s17
	v_add_co_u32_e32 v8, vcc, s16, v24
	v_addc_co_u32_e32 v9, vcc, v9, v21, vcc
	global_load_ushort v11, v[8:9], off offset:256
	v_mov_b32_e32 v9, s17
	v_add_co_u32_e32 v8, vcc, s16, v23
	v_addc_co_u32_e32 v9, vcc, v9, v37, vcc
	global_load_ushort v12, v[8:9], off offset:256
	v_mov_b32_e32 v9, s17
	v_add_co_u32_e32 v8, vcc, s16, v22
	v_addc_co_u32_e32 v9, vcc, v9, v36, vcc
	global_load_ushort v8, v[8:9], off offset:256
	v_add_co_u32_e32 v9, vcc, 1, v4
	v_addc_co_u32_e32 v13, vcc, 0, v5, vcc
	s_waitcnt vmcnt(3)
	v_cmp_neq_f16_e32 vcc, 0, v10
	v_cndmask_b32_e32 v4, v4, v9, vcc
	v_cndmask_b32_e32 v5, v5, v13, vcc
	v_add_co_u32_e32 v9, vcc, 1, v4
	v_addc_co_u32_e32 v10, vcc, 0, v5, vcc
	s_waitcnt vmcnt(2)
	v_cmp_neq_f16_e32 vcc, 0, v11
	v_cndmask_b32_e32 v4, v4, v9, vcc
	v_cndmask_b32_e32 v5, v5, v10, vcc
	;; [unrolled: 6-line block ×4, first 2 shown]
	v_mov_b32_e32 v15, v7
	v_mov_b32_e32 v14, v6
	v_mov_b32_e32 v13, v5
	v_mov_b32_e32 v12, v4
	v_mov_b32_e32 v11, v3
	v_mov_b32_e32 v10, v2
	v_mov_b32_e32 v9, v1
	v_mov_b32_e32 v8, v0
.LBB26_22:                              ;   in Loop: Header=BB26_4 Depth=1
	v_mov_b32_e32 v0, v8
	v_mov_b32_e32 v1, v9
	;; [unrolled: 1-line block ×8, first 2 shown]
	s_or_b64 exec, exec, s[36:37]
	s_and_saveexec_b64 s[10:11], s[2:3]
	s_cbranch_execz .LBB26_3
.LBB26_23:                              ;   in Loop: Header=BB26_4 Depth=1
	s_and_b64 vcc, exec, s[8:9]
	s_mov_b64 s[8:9], -1
                                        ; implicit-def: $vgpr8_vgpr9_vgpr10_vgpr11_vgpr12_vgpr13_vgpr14_vgpr15
	s_cbranch_vccnz .LBB26_25
; %bb.24:                               ;   in Loop: Header=BB26_4 Depth=1
	v_add_co_u32_e32 v8, vcc, s16, v34
	v_mov_b32_e32 v9, s17
	v_addc_co_u32_e32 v9, vcc, v9, v35, vcc
	global_load_dwordx2 v[8:9], v[8:9], off
	v_add_co_u32_e64 v10, s[8:9], 1, v6
	v_addc_co_u32_e64 v11, s[8:9], 0, v7, s[8:9]
	v_mov_b32_e32 v13, v5
	s_waitcnt vmcnt(0)
	v_cmp_neq_f16_e32 vcc, 0, v8
	v_cndmask_b32_e32 v10, v6, v10, vcc
	v_cndmask_b32_e32 v11, v7, v11, vcc
	v_cmp_neq_f16_sdwa vcc, v8, v19 src0_sel:WORD_1 src1_sel:DWORD
	v_add_co_u32_e64 v8, s[8:9], 1, v10
	v_addc_co_u32_e64 v12, s[8:9], 0, v11, s[8:9]
	v_cndmask_b32_e32 v8, v10, v8, vcc
	v_cndmask_b32_e32 v11, v11, v12, vcc
	v_cmp_neq_f16_e32 vcc, 0, v9
	v_add_co_u32_e64 v10, s[8:9], 1, v8
	v_addc_co_u32_e64 v12, s[8:9], 0, v11, s[8:9]
	v_cndmask_b32_e32 v8, v8, v10, vcc
	v_cndmask_b32_e32 v11, v11, v12, vcc
	v_cmp_neq_f16_sdwa vcc, v9, v19 src0_sel:WORD_1 src1_sel:DWORD
	v_add_co_u32_e64 v9, s[8:9], 1, v8
	v_addc_co_u32_e64 v10, s[8:9], 0, v11, s[8:9]
	v_cndmask_b32_e32 v15, v11, v10, vcc
	v_cndmask_b32_e32 v14, v8, v9, vcc
	v_mov_b32_e32 v8, v0
	v_mov_b32_e32 v9, v1
	;; [unrolled: 1-line block ×5, first 2 shown]
	s_mov_b64 s[8:9], 0
.LBB26_25:                              ;   in Loop: Header=BB26_4 Depth=1
	s_andn2_b64 vcc, exec, s[8:9]
	s_cbranch_vccnz .LBB26_2
; %bb.26:                               ;   in Loop: Header=BB26_4 Depth=1
	v_mov_b32_e32 v9, s17
	v_add_co_u32_e32 v8, vcc, s16, v25
	v_addc_co_u32_e32 v9, vcc, v9, v38, vcc
	global_load_ushort v10, v[8:9], off offset:384
	v_mov_b32_e32 v9, s17
	v_add_co_u32_e32 v8, vcc, s16, v24
	v_addc_co_u32_e32 v9, vcc, v9, v21, vcc
	global_load_ushort v11, v[8:9], off offset:384
	;; [unrolled: 4-line block ×4, first 2 shown]
	v_add_co_u32_e32 v9, vcc, 1, v6
	v_addc_co_u32_e32 v13, vcc, 0, v7, vcc
	s_waitcnt vmcnt(3)
	v_cmp_neq_f16_e32 vcc, 0, v10
	v_cndmask_b32_e32 v6, v6, v9, vcc
	v_cndmask_b32_e32 v7, v7, v13, vcc
	v_add_co_u32_e32 v9, vcc, 1, v6
	v_addc_co_u32_e32 v10, vcc, 0, v7, vcc
	s_waitcnt vmcnt(2)
	v_cmp_neq_f16_e32 vcc, 0, v11
	v_cndmask_b32_e32 v6, v6, v9, vcc
	v_cndmask_b32_e32 v7, v7, v10, vcc
	;; [unrolled: 6-line block ×4, first 2 shown]
	v_mov_b32_e32 v15, v7
	v_mov_b32_e32 v14, v6
	;; [unrolled: 1-line block ×8, first 2 shown]
	s_branch .LBB26_2
.LBB26_27:
	s_or_b64 exec, exec, s[34:35]
.LBB26_28:
	s_or_b64 exec, exec, s[26:27]
	v_cmp_lt_i64_e64 s[0:1], s[22:23], 1
	s_and_b64 vcc, exec, s[0:1]
	s_cbranch_vccnz .LBB26_134
; %bb.29:
	v_lshlrev_b64 v[8:9], 1, v[16:17]
	v_mov_b32_e32 v10, s17
	v_add_co_u32_e32 v30, vcc, s16, v8
	v_addc_co_u32_e32 v31, vcc, v10, v9, vcc
	s_cmp_lg_u32 s38, 1
	v_cmp_gt_i64_e32 vcc, s[12:13], v[18:19]
	v_lshlrev_b64 v[22:23], 1, v[18:19]
	s_cselect_b64 s[2:3], -1, 0
	s_and_saveexec_b64 s[4:5], vcc
	s_cbranch_execz .LBB26_55
; %bb.30:
	v_mad_u64_u32 v[8:9], s[0:1], v18, s18, 0
	v_cmp_gt_i64_e32 vcc, s[14:15], v[16:17]
	v_mad_u64_u32 v[9:10], s[0:1], v18, s19, v[9:10]
	v_mov_b32_e32 v10, s17
	v_lshlrev_b64 v[8:9], 1, v[8:9]
	v_add_co_u32_e64 v24, s[0:1], v30, v8
	v_addc_co_u32_e64 v25, s[0:1], v31, v9, s[0:1]
	v_add_co_u32_e64 v21, s[0:1], s16, v22
	v_addc_co_u32_e64 v32, s[0:1], v10, v23, s[0:1]
	s_and_saveexec_b64 s[0:1], vcc
	s_cbranch_execz .LBB26_36
; %bb.31:
	s_and_b64 vcc, exec, s[2:3]
	s_cbranch_vccz .LBB26_33
; %bb.32:
	global_load_ushort v26, v[24:25], off
	v_mov_b32_e32 v15, v7
	v_mov_b32_e32 v8, v0
	;; [unrolled: 1-line block ×8, first 2 shown]
	s_waitcnt vmcnt(0)
	v_cmp_neq_f16_e32 vcc, 0, v26
	v_cndmask_b32_e64 v8, 0, 1, vcc
	v_add_co_u32_e32 v8, vcc, v0, v8
	v_addc_co_u32_e32 v9, vcc, 0, v1, vcc
	s_cbranch_execz .LBB26_34
	s_branch .LBB26_35
.LBB26_33:
                                        ; implicit-def: $vgpr8_vgpr9_vgpr10_vgpr11_vgpr12_vgpr13_vgpr14_vgpr15
.LBB26_34:
	v_mul_lo_u32 v10, v17, s18
	v_mul_lo_u32 v11, v16, s19
	v_mad_u64_u32 v[8:9], s[6:7], v16, s18, 0
	v_add3_u32 v9, v9, v11, v10
	v_lshlrev_b64 v[8:9], 1, v[8:9]
	v_add_co_u32_e32 v8, vcc, v21, v8
	v_addc_co_u32_e32 v9, vcc, v32, v9, vcc
	global_load_ushort v8, v[8:9], off
	s_waitcnt vmcnt(0)
	v_cmp_neq_f16_e32 vcc, 0, v8
	v_cndmask_b32_e64 v8, 0, 1, vcc
	v_add_co_u32_e32 v0, vcc, v0, v8
	v_addc_co_u32_e32 v1, vcc, 0, v1, vcc
	v_mov_b32_e32 v15, v7
	v_mov_b32_e32 v14, v6
	;; [unrolled: 1-line block ×8, first 2 shown]
.LBB26_35:
	v_mov_b32_e32 v0, v8
	v_mov_b32_e32 v1, v9
	;; [unrolled: 1-line block ×8, first 2 shown]
.LBB26_36:
	s_or_b64 exec, exec, s[0:1]
	v_or_b32_e32 v26, 1, v16
	v_mov_b32_e32 v27, v17
	v_cmp_gt_i64_e32 vcc, s[14:15], v[26:27]
	s_and_saveexec_b64 s[0:1], vcc
	s_cbranch_execz .LBB26_42
; %bb.37:
	s_andn2_b64 vcc, exec, s[2:3]
	s_cbranch_vccnz .LBB26_39
; %bb.38:
	global_load_ushort v33, v[24:25], off offset:2
	v_mov_b32_e32 v15, v7
	v_mov_b32_e32 v8, v0
	v_mov_b32_e32 v9, v1
	v_mov_b32_e32 v14, v6
	v_mov_b32_e32 v13, v5
	v_mov_b32_e32 v12, v4
	v_mov_b32_e32 v11, v3
	v_mov_b32_e32 v10, v2
	s_waitcnt vmcnt(0)
	v_cmp_neq_f16_e32 vcc, 0, v33
	v_cndmask_b32_e64 v8, 0, 1, vcc
	v_add_co_u32_e32 v8, vcc, v0, v8
	v_addc_co_u32_e32 v9, vcc, 0, v1, vcc
	s_cbranch_execz .LBB26_40
	s_branch .LBB26_41
.LBB26_39:
                                        ; implicit-def: $vgpr8_vgpr9_vgpr10_vgpr11_vgpr12_vgpr13_vgpr14_vgpr15
.LBB26_40:
	v_mul_lo_u32 v10, v27, s18
	v_mul_lo_u32 v11, v26, s19
	v_mad_u64_u32 v[8:9], s[6:7], v26, s18, 0
	v_add3_u32 v9, v9, v11, v10
	v_lshlrev_b64 v[8:9], 1, v[8:9]
	v_add_co_u32_e32 v8, vcc, v21, v8
	v_addc_co_u32_e32 v9, vcc, v32, v9, vcc
	global_load_ushort v8, v[8:9], off
	s_waitcnt vmcnt(0)
	v_cmp_neq_f16_e32 vcc, 0, v8
	v_cndmask_b32_e64 v8, 0, 1, vcc
	v_add_co_u32_e32 v0, vcc, v0, v8
	v_addc_co_u32_e32 v1, vcc, 0, v1, vcc
	v_mov_b32_e32 v15, v7
	v_mov_b32_e32 v14, v6
	v_mov_b32_e32 v13, v5
	v_mov_b32_e32 v12, v4
	v_mov_b32_e32 v11, v3
	v_mov_b32_e32 v10, v2
	v_mov_b32_e32 v9, v1
	v_mov_b32_e32 v8, v0
.LBB26_41:
	v_mov_b32_e32 v0, v8
	v_mov_b32_e32 v1, v9
	v_mov_b32_e32 v2, v10
	v_mov_b32_e32 v3, v11
	v_mov_b32_e32 v4, v12
	v_mov_b32_e32 v5, v13
	v_mov_b32_e32 v6, v14
	v_mov_b32_e32 v7, v15
.LBB26_42:
	s_or_b64 exec, exec, s[0:1]
	v_or_b32_e32 v26, 2, v16
	v_mov_b32_e32 v27, v17
	v_cmp_gt_i64_e32 vcc, s[14:15], v[26:27]
	s_and_saveexec_b64 s[0:1], vcc
	s_cbranch_execz .LBB26_48
; %bb.43:
	s_andn2_b64 vcc, exec, s[2:3]
	s_cbranch_vccnz .LBB26_45
; %bb.44:
	global_load_ushort v33, v[24:25], off offset:4
	v_mov_b32_e32 v15, v7
	v_mov_b32_e32 v8, v0
	v_mov_b32_e32 v9, v1
	v_mov_b32_e32 v14, v6
	v_mov_b32_e32 v13, v5
	v_mov_b32_e32 v12, v4
	v_mov_b32_e32 v11, v3
	v_mov_b32_e32 v10, v2
	s_waitcnt vmcnt(0)
	v_cmp_neq_f16_e32 vcc, 0, v33
	v_cndmask_b32_e64 v8, 0, 1, vcc
	v_add_co_u32_e32 v8, vcc, v0, v8
	v_addc_co_u32_e32 v9, vcc, 0, v1, vcc
	s_cbranch_execz .LBB26_46
	s_branch .LBB26_47
.LBB26_45:
                                        ; implicit-def: $vgpr8_vgpr9_vgpr10_vgpr11_vgpr12_vgpr13_vgpr14_vgpr15
.LBB26_46:
	v_mul_lo_u32 v10, v27, s18
	v_mul_lo_u32 v11, v26, s19
	v_mad_u64_u32 v[8:9], s[6:7], v26, s18, 0
	v_add3_u32 v9, v9, v11, v10
	v_lshlrev_b64 v[8:9], 1, v[8:9]
	v_add_co_u32_e32 v8, vcc, v21, v8
	v_addc_co_u32_e32 v9, vcc, v32, v9, vcc
	global_load_ushort v8, v[8:9], off
	s_waitcnt vmcnt(0)
	v_cmp_neq_f16_e32 vcc, 0, v8
	v_cndmask_b32_e64 v8, 0, 1, vcc
	v_add_co_u32_e32 v0, vcc, v0, v8
	v_addc_co_u32_e32 v1, vcc, 0, v1, vcc
	v_mov_b32_e32 v15, v7
	v_mov_b32_e32 v14, v6
	v_mov_b32_e32 v13, v5
	v_mov_b32_e32 v12, v4
	v_mov_b32_e32 v11, v3
	v_mov_b32_e32 v10, v2
	v_mov_b32_e32 v9, v1
	v_mov_b32_e32 v8, v0
.LBB26_47:
	v_mov_b32_e32 v0, v8
	v_mov_b32_e32 v1, v9
	v_mov_b32_e32 v2, v10
	v_mov_b32_e32 v3, v11
	v_mov_b32_e32 v4, v12
	v_mov_b32_e32 v5, v13
	v_mov_b32_e32 v6, v14
	v_mov_b32_e32 v7, v15
.LBB26_48:
	;; [unrolled: 60-line block ×3, first 2 shown]
	s_or_b64 exec, exec, s[0:1]
.LBB26_55:
	s_or_b64 exec, exec, s[4:5]
	v_mov_b32_e32 v21, v19
	v_cmp_gt_i64_e32 vcc, s[12:13], v[20:21]
	s_and_saveexec_b64 s[4:5], vcc
	s_cbranch_execz .LBB26_81
; %bb.56:
	v_mad_u64_u32 v[8:9], s[0:1], v20, s18, 0
	v_cmp_gt_i64_e32 vcc, s[14:15], v[16:17]
	v_mad_u64_u32 v[9:10], s[0:1], v20, s19, v[9:10]
	v_mov_b32_e32 v10, s17
	v_lshlrev_b64 v[8:9], 1, v[8:9]
	v_add_co_u32_e64 v20, s[0:1], v30, v8
	v_addc_co_u32_e64 v21, s[0:1], v31, v9, s[0:1]
	v_add_co_u32_e64 v26, s[0:1], s16, v22
	v_addc_co_u32_e64 v27, s[0:1], v10, v23, s[0:1]
	s_and_saveexec_b64 s[0:1], vcc
	s_cbranch_execz .LBB26_62
; %bb.57:
	s_andn2_b64 vcc, exec, s[2:3]
	s_cbranch_vccnz .LBB26_59
; %bb.58:
	global_load_ushort v24, v[20:21], off
	v_mov_b32_e32 v15, v7
	v_mov_b32_e32 v10, v2
	;; [unrolled: 1-line block ×8, first 2 shown]
	s_waitcnt vmcnt(0)
	v_cmp_neq_f16_e32 vcc, 0, v24
	v_cndmask_b32_e64 v10, 0, 1, vcc
	v_add_co_u32_e32 v10, vcc, v2, v10
	v_addc_co_u32_e32 v11, vcc, 0, v3, vcc
	s_cbranch_execz .LBB26_60
	s_branch .LBB26_61
.LBB26_59:
                                        ; implicit-def: $vgpr8_vgpr9_vgpr10_vgpr11_vgpr12_vgpr13_vgpr14_vgpr15
.LBB26_60:
	v_mul_lo_u32 v10, v17, s18
	v_mul_lo_u32 v11, v16, s19
	v_mad_u64_u32 v[8:9], s[6:7], v16, s18, 0
	v_add3_u32 v9, v9, v11, v10
	v_lshlrev_b64 v[8:9], 1, v[8:9]
	v_add_co_u32_e32 v8, vcc, v26, v8
	v_addc_co_u32_e32 v9, vcc, v27, v9, vcc
	global_load_ushort v8, v[8:9], off offset:128
	s_waitcnt vmcnt(0)
	v_cmp_neq_f16_e32 vcc, 0, v8
	v_cndmask_b32_e64 v8, 0, 1, vcc
	v_add_co_u32_e32 v2, vcc, v2, v8
	v_addc_co_u32_e32 v3, vcc, 0, v3, vcc
	v_mov_b32_e32 v15, v7
	v_mov_b32_e32 v14, v6
	v_mov_b32_e32 v13, v5
	v_mov_b32_e32 v12, v4
	v_mov_b32_e32 v11, v3
	v_mov_b32_e32 v10, v2
	v_mov_b32_e32 v9, v1
	v_mov_b32_e32 v8, v0
.LBB26_61:
	v_mov_b32_e32 v0, v8
	v_mov_b32_e32 v1, v9
	;; [unrolled: 1-line block ×8, first 2 shown]
.LBB26_62:
	s_or_b64 exec, exec, s[0:1]
	v_or_b32_e32 v24, 1, v16
	v_mov_b32_e32 v25, v17
	v_cmp_gt_i64_e32 vcc, s[14:15], v[24:25]
	s_and_saveexec_b64 s[0:1], vcc
	s_cbranch_execz .LBB26_68
; %bb.63:
	s_andn2_b64 vcc, exec, s[2:3]
	s_cbranch_vccnz .LBB26_65
; %bb.64:
	global_load_ushort v32, v[20:21], off offset:2
	v_mov_b32_e32 v15, v7
	v_mov_b32_e32 v10, v2
	v_mov_b32_e32 v11, v3
	v_mov_b32_e32 v14, v6
	v_mov_b32_e32 v13, v5
	v_mov_b32_e32 v12, v4
	v_mov_b32_e32 v9, v1
	v_mov_b32_e32 v8, v0
	s_waitcnt vmcnt(0)
	v_cmp_neq_f16_e32 vcc, 0, v32
	v_cndmask_b32_e64 v10, 0, 1, vcc
	v_add_co_u32_e32 v10, vcc, v2, v10
	v_addc_co_u32_e32 v11, vcc, 0, v3, vcc
	s_cbranch_execz .LBB26_66
	s_branch .LBB26_67
.LBB26_65:
                                        ; implicit-def: $vgpr8_vgpr9_vgpr10_vgpr11_vgpr12_vgpr13_vgpr14_vgpr15
.LBB26_66:
	v_mul_lo_u32 v10, v25, s18
	v_mul_lo_u32 v11, v24, s19
	v_mad_u64_u32 v[8:9], s[6:7], v24, s18, 0
	v_add3_u32 v9, v9, v11, v10
	v_lshlrev_b64 v[8:9], 1, v[8:9]
	v_add_co_u32_e32 v8, vcc, v26, v8
	v_addc_co_u32_e32 v9, vcc, v27, v9, vcc
	global_load_ushort v8, v[8:9], off offset:128
	s_waitcnt vmcnt(0)
	v_cmp_neq_f16_e32 vcc, 0, v8
	v_cndmask_b32_e64 v8, 0, 1, vcc
	v_add_co_u32_e32 v2, vcc, v2, v8
	v_addc_co_u32_e32 v3, vcc, 0, v3, vcc
	v_mov_b32_e32 v15, v7
	v_mov_b32_e32 v14, v6
	v_mov_b32_e32 v13, v5
	v_mov_b32_e32 v12, v4
	v_mov_b32_e32 v11, v3
	v_mov_b32_e32 v10, v2
	v_mov_b32_e32 v9, v1
	v_mov_b32_e32 v8, v0
.LBB26_67:
	v_mov_b32_e32 v0, v8
	v_mov_b32_e32 v1, v9
	v_mov_b32_e32 v2, v10
	v_mov_b32_e32 v3, v11
	v_mov_b32_e32 v4, v12
	v_mov_b32_e32 v5, v13
	v_mov_b32_e32 v6, v14
	v_mov_b32_e32 v7, v15
.LBB26_68:
	s_or_b64 exec, exec, s[0:1]
	v_or_b32_e32 v24, 2, v16
	v_mov_b32_e32 v25, v17
	v_cmp_gt_i64_e32 vcc, s[14:15], v[24:25]
	s_and_saveexec_b64 s[0:1], vcc
	s_cbranch_execz .LBB26_74
; %bb.69:
	s_andn2_b64 vcc, exec, s[2:3]
	s_cbranch_vccnz .LBB26_71
; %bb.70:
	global_load_ushort v32, v[20:21], off offset:4
	v_mov_b32_e32 v15, v7
	v_mov_b32_e32 v10, v2
	v_mov_b32_e32 v11, v3
	v_mov_b32_e32 v14, v6
	v_mov_b32_e32 v13, v5
	v_mov_b32_e32 v12, v4
	v_mov_b32_e32 v9, v1
	v_mov_b32_e32 v8, v0
	s_waitcnt vmcnt(0)
	v_cmp_neq_f16_e32 vcc, 0, v32
	v_cndmask_b32_e64 v10, 0, 1, vcc
	v_add_co_u32_e32 v10, vcc, v2, v10
	v_addc_co_u32_e32 v11, vcc, 0, v3, vcc
	s_cbranch_execz .LBB26_72
	s_branch .LBB26_73
.LBB26_71:
                                        ; implicit-def: $vgpr8_vgpr9_vgpr10_vgpr11_vgpr12_vgpr13_vgpr14_vgpr15
.LBB26_72:
	v_mul_lo_u32 v10, v25, s18
	v_mul_lo_u32 v11, v24, s19
	v_mad_u64_u32 v[8:9], s[6:7], v24, s18, 0
	v_add3_u32 v9, v9, v11, v10
	v_lshlrev_b64 v[8:9], 1, v[8:9]
	v_add_co_u32_e32 v8, vcc, v26, v8
	v_addc_co_u32_e32 v9, vcc, v27, v9, vcc
	global_load_ushort v8, v[8:9], off offset:128
	s_waitcnt vmcnt(0)
	v_cmp_neq_f16_e32 vcc, 0, v8
	v_cndmask_b32_e64 v8, 0, 1, vcc
	v_add_co_u32_e32 v2, vcc, v2, v8
	v_addc_co_u32_e32 v3, vcc, 0, v3, vcc
	v_mov_b32_e32 v15, v7
	v_mov_b32_e32 v14, v6
	v_mov_b32_e32 v13, v5
	v_mov_b32_e32 v12, v4
	v_mov_b32_e32 v11, v3
	v_mov_b32_e32 v10, v2
	v_mov_b32_e32 v9, v1
	v_mov_b32_e32 v8, v0
.LBB26_73:
	v_mov_b32_e32 v0, v8
	v_mov_b32_e32 v1, v9
	v_mov_b32_e32 v2, v10
	v_mov_b32_e32 v3, v11
	v_mov_b32_e32 v4, v12
	v_mov_b32_e32 v5, v13
	v_mov_b32_e32 v6, v14
	v_mov_b32_e32 v7, v15
.LBB26_74:
	s_or_b64 exec, exec, s[0:1]
	v_or_b32_e32 v24, 3, v16
	v_mov_b32_e32 v25, v17
	v_cmp_gt_i64_e32 vcc, s[14:15], v[24:25]
	s_and_saveexec_b64 s[0:1], vcc
	s_cbranch_execz .LBB26_80
; %bb.75:
	s_andn2_b64 vcc, exec, s[2:3]
	s_cbranch_vccnz .LBB26_77
; %bb.76:
	global_load_ushort v20, v[20:21], off offset:6
	v_mov_b32_e32 v15, v7
	v_mov_b32_e32 v10, v2
	v_mov_b32_e32 v11, v3
	v_mov_b32_e32 v14, v6
	v_mov_b32_e32 v13, v5
	v_mov_b32_e32 v12, v4
	v_mov_b32_e32 v9, v1
	v_mov_b32_e32 v8, v0
	s_waitcnt vmcnt(0)
	v_cmp_neq_f16_e32 vcc, 0, v20
	v_cndmask_b32_e64 v10, 0, 1, vcc
	v_add_co_u32_e32 v10, vcc, v2, v10
	v_addc_co_u32_e32 v11, vcc, 0, v3, vcc
	s_cbranch_execz .LBB26_78
	s_branch .LBB26_79
.LBB26_77:
                                        ; implicit-def: $vgpr8_vgpr9_vgpr10_vgpr11_vgpr12_vgpr13_vgpr14_vgpr15
.LBB26_78:
	v_mul_lo_u32 v10, v25, s18
	v_mul_lo_u32 v11, v24, s19
	v_mad_u64_u32 v[8:9], s[6:7], v24, s18, 0
	v_add3_u32 v9, v9, v11, v10
	v_lshlrev_b64 v[8:9], 1, v[8:9]
	v_add_co_u32_e32 v8, vcc, v26, v8
	v_addc_co_u32_e32 v9, vcc, v27, v9, vcc
	global_load_ushort v8, v[8:9], off offset:128
	s_waitcnt vmcnt(0)
	v_cmp_neq_f16_e32 vcc, 0, v8
	v_cndmask_b32_e64 v8, 0, 1, vcc
	v_add_co_u32_e32 v2, vcc, v2, v8
	v_addc_co_u32_e32 v3, vcc, 0, v3, vcc
	v_mov_b32_e32 v15, v7
	v_mov_b32_e32 v14, v6
	v_mov_b32_e32 v13, v5
	v_mov_b32_e32 v12, v4
	v_mov_b32_e32 v11, v3
	v_mov_b32_e32 v10, v2
	v_mov_b32_e32 v9, v1
	v_mov_b32_e32 v8, v0
.LBB26_79:
	v_mov_b32_e32 v0, v8
	v_mov_b32_e32 v1, v9
	v_mov_b32_e32 v2, v10
	v_mov_b32_e32 v3, v11
	v_mov_b32_e32 v4, v12
	v_mov_b32_e32 v5, v13
	v_mov_b32_e32 v6, v14
	v_mov_b32_e32 v7, v15
.LBB26_80:
	s_or_b64 exec, exec, s[0:1]
.LBB26_81:
	s_or_b64 exec, exec, s[4:5]
	v_or_b32_e32 v8, 0x80, v18
	v_mov_b32_e32 v9, v19
	v_cmp_gt_i64_e32 vcc, s[12:13], v[8:9]
	s_and_saveexec_b64 s[4:5], vcc
	s_cbranch_execz .LBB26_107
; %bb.82:
	v_mad_u64_u32 v[9:10], s[0:1], v8, s18, 0
	v_cmp_gt_i64_e32 vcc, s[14:15], v[16:17]
	v_mad_u64_u32 v[10:11], s[0:1], v8, s19, v[10:11]
	v_mov_b32_e32 v11, s17
	v_lshlrev_b64 v[8:9], 1, v[9:10]
	v_add_co_u32_e64 v20, s[0:1], v30, v8
	v_addc_co_u32_e64 v21, s[0:1], v31, v9, s[0:1]
	v_add_co_u32_e64 v26, s[0:1], s16, v22
	v_addc_co_u32_e64 v27, s[0:1], v11, v23, s[0:1]
	s_and_saveexec_b64 s[0:1], vcc
	s_cbranch_execz .LBB26_88
; %bb.83:
	s_andn2_b64 vcc, exec, s[2:3]
	s_cbranch_vccnz .LBB26_85
; %bb.84:
	global_load_ushort v24, v[20:21], off
	v_mov_b32_e32 v15, v7
	v_mov_b32_e32 v12, v4
	v_mov_b32_e32 v13, v5
	v_mov_b32_e32 v14, v6
	v_mov_b32_e32 v11, v3
	v_mov_b32_e32 v10, v2
	v_mov_b32_e32 v9, v1
	v_mov_b32_e32 v8, v0
	s_waitcnt vmcnt(0)
	v_cmp_neq_f16_e32 vcc, 0, v24
	v_cndmask_b32_e64 v12, 0, 1, vcc
	v_add_co_u32_e32 v12, vcc, v4, v12
	v_addc_co_u32_e32 v13, vcc, 0, v5, vcc
	s_cbranch_execz .LBB26_86
	s_branch .LBB26_87
.LBB26_85:
                                        ; implicit-def: $vgpr8_vgpr9_vgpr10_vgpr11_vgpr12_vgpr13_vgpr14_vgpr15
.LBB26_86:
	v_mul_lo_u32 v10, v17, s18
	v_mul_lo_u32 v11, v16, s19
	v_mad_u64_u32 v[8:9], s[6:7], v16, s18, 0
	v_add3_u32 v9, v9, v11, v10
	v_lshlrev_b64 v[8:9], 1, v[8:9]
	v_add_co_u32_e32 v8, vcc, v26, v8
	v_addc_co_u32_e32 v9, vcc, v27, v9, vcc
	global_load_ushort v8, v[8:9], off offset:256
	s_waitcnt vmcnt(0)
	v_cmp_neq_f16_e32 vcc, 0, v8
	v_cndmask_b32_e64 v8, 0, 1, vcc
	v_add_co_u32_e32 v4, vcc, v4, v8
	v_addc_co_u32_e32 v5, vcc, 0, v5, vcc
	v_mov_b32_e32 v15, v7
	v_mov_b32_e32 v14, v6
	v_mov_b32_e32 v13, v5
	v_mov_b32_e32 v12, v4
	v_mov_b32_e32 v11, v3
	v_mov_b32_e32 v10, v2
	v_mov_b32_e32 v9, v1
	v_mov_b32_e32 v8, v0
.LBB26_87:
	v_mov_b32_e32 v0, v8
	v_mov_b32_e32 v1, v9
	v_mov_b32_e32 v2, v10
	v_mov_b32_e32 v3, v11
	v_mov_b32_e32 v4, v12
	v_mov_b32_e32 v5, v13
	v_mov_b32_e32 v6, v14
	v_mov_b32_e32 v7, v15
.LBB26_88:
	s_or_b64 exec, exec, s[0:1]
	v_or_b32_e32 v24, 1, v16
	v_mov_b32_e32 v25, v17
	v_cmp_gt_i64_e32 vcc, s[14:15], v[24:25]
	s_and_saveexec_b64 s[0:1], vcc
	s_cbranch_execz .LBB26_94
; %bb.89:
	s_andn2_b64 vcc, exec, s[2:3]
	s_cbranch_vccnz .LBB26_91
; %bb.90:
	global_load_ushort v32, v[20:21], off offset:2
	v_mov_b32_e32 v15, v7
	v_mov_b32_e32 v12, v4
	v_mov_b32_e32 v13, v5
	v_mov_b32_e32 v14, v6
	v_mov_b32_e32 v11, v3
	v_mov_b32_e32 v10, v2
	v_mov_b32_e32 v9, v1
	v_mov_b32_e32 v8, v0
	s_waitcnt vmcnt(0)
	v_cmp_neq_f16_e32 vcc, 0, v32
	v_cndmask_b32_e64 v12, 0, 1, vcc
	v_add_co_u32_e32 v12, vcc, v4, v12
	v_addc_co_u32_e32 v13, vcc, 0, v5, vcc
	s_cbranch_execz .LBB26_92
	s_branch .LBB26_93
.LBB26_91:
                                        ; implicit-def: $vgpr8_vgpr9_vgpr10_vgpr11_vgpr12_vgpr13_vgpr14_vgpr15
.LBB26_92:
	v_mul_lo_u32 v10, v25, s18
	v_mul_lo_u32 v11, v24, s19
	v_mad_u64_u32 v[8:9], s[6:7], v24, s18, 0
	v_add3_u32 v9, v9, v11, v10
	v_lshlrev_b64 v[8:9], 1, v[8:9]
	v_add_co_u32_e32 v8, vcc, v26, v8
	v_addc_co_u32_e32 v9, vcc, v27, v9, vcc
	global_load_ushort v8, v[8:9], off offset:256
	s_waitcnt vmcnt(0)
	v_cmp_neq_f16_e32 vcc, 0, v8
	v_cndmask_b32_e64 v8, 0, 1, vcc
	v_add_co_u32_e32 v4, vcc, v4, v8
	v_addc_co_u32_e32 v5, vcc, 0, v5, vcc
	v_mov_b32_e32 v15, v7
	v_mov_b32_e32 v14, v6
	v_mov_b32_e32 v13, v5
	v_mov_b32_e32 v12, v4
	v_mov_b32_e32 v11, v3
	v_mov_b32_e32 v10, v2
	v_mov_b32_e32 v9, v1
	v_mov_b32_e32 v8, v0
.LBB26_93:
	v_mov_b32_e32 v0, v8
	v_mov_b32_e32 v1, v9
	v_mov_b32_e32 v2, v10
	v_mov_b32_e32 v3, v11
	v_mov_b32_e32 v4, v12
	v_mov_b32_e32 v5, v13
	v_mov_b32_e32 v6, v14
	v_mov_b32_e32 v7, v15
.LBB26_94:
	s_or_b64 exec, exec, s[0:1]
	v_or_b32_e32 v24, 2, v16
	v_mov_b32_e32 v25, v17
	v_cmp_gt_i64_e32 vcc, s[14:15], v[24:25]
	s_and_saveexec_b64 s[0:1], vcc
	s_cbranch_execz .LBB26_100
; %bb.95:
	s_andn2_b64 vcc, exec, s[2:3]
	s_cbranch_vccnz .LBB26_97
; %bb.96:
	global_load_ushort v32, v[20:21], off offset:4
	v_mov_b32_e32 v15, v7
	v_mov_b32_e32 v12, v4
	v_mov_b32_e32 v13, v5
	v_mov_b32_e32 v14, v6
	v_mov_b32_e32 v11, v3
	v_mov_b32_e32 v10, v2
	v_mov_b32_e32 v9, v1
	v_mov_b32_e32 v8, v0
	s_waitcnt vmcnt(0)
	v_cmp_neq_f16_e32 vcc, 0, v32
	v_cndmask_b32_e64 v12, 0, 1, vcc
	v_add_co_u32_e32 v12, vcc, v4, v12
	v_addc_co_u32_e32 v13, vcc, 0, v5, vcc
	s_cbranch_execz .LBB26_98
	s_branch .LBB26_99
.LBB26_97:
                                        ; implicit-def: $vgpr8_vgpr9_vgpr10_vgpr11_vgpr12_vgpr13_vgpr14_vgpr15
.LBB26_98:
	v_mul_lo_u32 v10, v25, s18
	v_mul_lo_u32 v11, v24, s19
	v_mad_u64_u32 v[8:9], s[6:7], v24, s18, 0
	v_add3_u32 v9, v9, v11, v10
	v_lshlrev_b64 v[8:9], 1, v[8:9]
	v_add_co_u32_e32 v8, vcc, v26, v8
	v_addc_co_u32_e32 v9, vcc, v27, v9, vcc
	global_load_ushort v8, v[8:9], off offset:256
	s_waitcnt vmcnt(0)
	v_cmp_neq_f16_e32 vcc, 0, v8
	v_cndmask_b32_e64 v8, 0, 1, vcc
	v_add_co_u32_e32 v4, vcc, v4, v8
	v_addc_co_u32_e32 v5, vcc, 0, v5, vcc
	v_mov_b32_e32 v15, v7
	v_mov_b32_e32 v14, v6
	v_mov_b32_e32 v13, v5
	v_mov_b32_e32 v12, v4
	v_mov_b32_e32 v11, v3
	v_mov_b32_e32 v10, v2
	v_mov_b32_e32 v9, v1
	v_mov_b32_e32 v8, v0
.LBB26_99:
	v_mov_b32_e32 v0, v8
	v_mov_b32_e32 v1, v9
	v_mov_b32_e32 v2, v10
	v_mov_b32_e32 v3, v11
	v_mov_b32_e32 v4, v12
	v_mov_b32_e32 v5, v13
	v_mov_b32_e32 v6, v14
	v_mov_b32_e32 v7, v15
.LBB26_100:
	;; [unrolled: 60-line block ×3, first 2 shown]
	s_or_b64 exec, exec, s[0:1]
.LBB26_107:
	s_or_b64 exec, exec, s[4:5]
	v_or_b32_e32 v18, 0xc0, v18
	v_cmp_gt_i64_e32 vcc, s[12:13], v[18:19]
	s_and_saveexec_b64 s[4:5], vcc
	s_cbranch_execz .LBB26_133
; %bb.108:
	v_mad_u64_u32 v[8:9], s[0:1], v18, s18, 0
	v_mad_u64_u32 v[9:10], s[0:1], v18, s19, v[9:10]
	v_mov_b32_e32 v10, s17
	v_lshlrev_b64 v[8:9], 1, v[8:9]
	v_add_co_u32_e32 v18, vcc, v30, v8
	v_addc_co_u32_e32 v19, vcc, v31, v9, vcc
	v_add_co_u32_e32 v22, vcc, s16, v22
	v_addc_co_u32_e32 v23, vcc, v10, v23, vcc
	v_cmp_gt_i64_e32 vcc, s[14:15], v[16:17]
	v_cndmask_b32_e64 v8, 0, 1, s[2:3]
	v_cmp_ne_u32_e64 s[0:1], 1, v8
	s_and_saveexec_b64 s[2:3], vcc
	s_cbranch_execz .LBB26_114
; %bb.109:
	s_and_b64 vcc, exec, s[0:1]
	s_cbranch_vccnz .LBB26_111
; %bb.110:
	global_load_ushort v20, v[18:19], off
	v_mov_b32_e32 v15, v7
	v_mov_b32_e32 v14, v6
	;; [unrolled: 1-line block ×8, first 2 shown]
	s_waitcnt vmcnt(0)
	v_cmp_neq_f16_e32 vcc, 0, v20
	v_cndmask_b32_e64 v14, 0, 1, vcc
	v_add_co_u32_e32 v14, vcc, v6, v14
	v_addc_co_u32_e32 v15, vcc, 0, v7, vcc
	s_cbranch_execz .LBB26_112
	s_branch .LBB26_113
.LBB26_111:
                                        ; implicit-def: $vgpr8_vgpr9_vgpr10_vgpr11_vgpr12_vgpr13_vgpr14_vgpr15
.LBB26_112:
	v_mul_lo_u32 v10, v17, s18
	v_mul_lo_u32 v11, v16, s19
	v_mad_u64_u32 v[8:9], s[6:7], v16, s18, 0
	v_add3_u32 v9, v9, v11, v10
	v_lshlrev_b64 v[8:9], 1, v[8:9]
	v_add_co_u32_e32 v8, vcc, v22, v8
	v_addc_co_u32_e32 v9, vcc, v23, v9, vcc
	global_load_ushort v8, v[8:9], off offset:384
	s_waitcnt vmcnt(0)
	v_cmp_neq_f16_e32 vcc, 0, v8
	v_cndmask_b32_e64 v8, 0, 1, vcc
	v_add_co_u32_e32 v6, vcc, v6, v8
	v_addc_co_u32_e32 v7, vcc, 0, v7, vcc
	v_mov_b32_e32 v15, v7
	v_mov_b32_e32 v14, v6
	;; [unrolled: 1-line block ×8, first 2 shown]
.LBB26_113:
	v_mov_b32_e32 v0, v8
	v_mov_b32_e32 v1, v9
	;; [unrolled: 1-line block ×8, first 2 shown]
.LBB26_114:
	s_or_b64 exec, exec, s[2:3]
	v_or_b32_e32 v20, 1, v16
	v_mov_b32_e32 v21, v17
	v_cmp_gt_i64_e32 vcc, s[14:15], v[20:21]
	s_and_saveexec_b64 s[2:3], vcc
	s_cbranch_execz .LBB26_120
; %bb.115:
	s_and_b64 vcc, exec, s[0:1]
	s_cbranch_vccnz .LBB26_117
; %bb.116:
	global_load_ushort v24, v[18:19], off offset:2
	v_mov_b32_e32 v15, v7
	v_mov_b32_e32 v14, v6
	;; [unrolled: 1-line block ×8, first 2 shown]
	s_waitcnt vmcnt(0)
	v_cmp_neq_f16_e32 vcc, 0, v24
	v_cndmask_b32_e64 v14, 0, 1, vcc
	v_add_co_u32_e32 v14, vcc, v6, v14
	v_addc_co_u32_e32 v15, vcc, 0, v7, vcc
	s_cbranch_execz .LBB26_118
	s_branch .LBB26_119
.LBB26_117:
                                        ; implicit-def: $vgpr8_vgpr9_vgpr10_vgpr11_vgpr12_vgpr13_vgpr14_vgpr15
.LBB26_118:
	v_mul_lo_u32 v10, v21, s18
	v_mul_lo_u32 v11, v20, s19
	v_mad_u64_u32 v[8:9], s[6:7], v20, s18, 0
	v_add3_u32 v9, v9, v11, v10
	v_lshlrev_b64 v[8:9], 1, v[8:9]
	v_add_co_u32_e32 v8, vcc, v22, v8
	v_addc_co_u32_e32 v9, vcc, v23, v9, vcc
	global_load_ushort v8, v[8:9], off offset:384
	s_waitcnt vmcnt(0)
	v_cmp_neq_f16_e32 vcc, 0, v8
	v_cndmask_b32_e64 v8, 0, 1, vcc
	v_add_co_u32_e32 v6, vcc, v6, v8
	v_addc_co_u32_e32 v7, vcc, 0, v7, vcc
	v_mov_b32_e32 v15, v7
	v_mov_b32_e32 v14, v6
	;; [unrolled: 1-line block ×8, first 2 shown]
.LBB26_119:
	v_mov_b32_e32 v0, v8
	v_mov_b32_e32 v1, v9
	;; [unrolled: 1-line block ×8, first 2 shown]
.LBB26_120:
	s_or_b64 exec, exec, s[2:3]
	v_or_b32_e32 v20, 2, v16
	v_mov_b32_e32 v21, v17
	v_cmp_gt_i64_e32 vcc, s[14:15], v[20:21]
	s_and_saveexec_b64 s[2:3], vcc
	s_cbranch_execz .LBB26_126
; %bb.121:
	s_and_b64 vcc, exec, s[0:1]
	s_cbranch_vccnz .LBB26_123
; %bb.122:
	global_load_ushort v24, v[18:19], off offset:4
	v_mov_b32_e32 v15, v7
	v_mov_b32_e32 v14, v6
	;; [unrolled: 1-line block ×8, first 2 shown]
	s_waitcnt vmcnt(0)
	v_cmp_neq_f16_e32 vcc, 0, v24
	v_cndmask_b32_e64 v14, 0, 1, vcc
	v_add_co_u32_e32 v14, vcc, v6, v14
	v_addc_co_u32_e32 v15, vcc, 0, v7, vcc
	s_cbranch_execz .LBB26_124
	s_branch .LBB26_125
.LBB26_123:
                                        ; implicit-def: $vgpr8_vgpr9_vgpr10_vgpr11_vgpr12_vgpr13_vgpr14_vgpr15
.LBB26_124:
	v_mul_lo_u32 v10, v21, s18
	v_mul_lo_u32 v11, v20, s19
	v_mad_u64_u32 v[8:9], s[6:7], v20, s18, 0
	v_add3_u32 v9, v9, v11, v10
	v_lshlrev_b64 v[8:9], 1, v[8:9]
	v_add_co_u32_e32 v8, vcc, v22, v8
	v_addc_co_u32_e32 v9, vcc, v23, v9, vcc
	global_load_ushort v8, v[8:9], off offset:384
	s_waitcnt vmcnt(0)
	v_cmp_neq_f16_e32 vcc, 0, v8
	v_cndmask_b32_e64 v8, 0, 1, vcc
	v_add_co_u32_e32 v6, vcc, v6, v8
	v_addc_co_u32_e32 v7, vcc, 0, v7, vcc
	v_mov_b32_e32 v15, v7
	v_mov_b32_e32 v14, v6
	;; [unrolled: 1-line block ×8, first 2 shown]
.LBB26_125:
	v_mov_b32_e32 v0, v8
	v_mov_b32_e32 v1, v9
	;; [unrolled: 1-line block ×8, first 2 shown]
.LBB26_126:
	s_or_b64 exec, exec, s[2:3]
	v_or_b32_e32 v16, 3, v16
	v_cmp_gt_i64_e32 vcc, s[14:15], v[16:17]
	s_and_saveexec_b64 s[2:3], vcc
	s_cbranch_execz .LBB26_132
; %bb.127:
	s_and_b64 vcc, exec, s[0:1]
	s_cbranch_vccnz .LBB26_129
; %bb.128:
	global_load_ushort v18, v[18:19], off offset:6
	v_mov_b32_e32 v15, v7
	v_mov_b32_e32 v14, v6
	;; [unrolled: 1-line block ×8, first 2 shown]
	s_waitcnt vmcnt(0)
	v_cmp_neq_f16_e32 vcc, 0, v18
	v_cndmask_b32_e64 v14, 0, 1, vcc
	v_add_co_u32_e32 v14, vcc, v6, v14
	v_addc_co_u32_e32 v15, vcc, 0, v7, vcc
	s_cbranch_execz .LBB26_130
	s_branch .LBB26_131
.LBB26_129:
                                        ; implicit-def: $vgpr8_vgpr9_vgpr10_vgpr11_vgpr12_vgpr13_vgpr14_vgpr15
.LBB26_130:
	v_mul_lo_u32 v10, v17, s18
	v_mul_lo_u32 v11, v16, s19
	v_mad_u64_u32 v[8:9], s[0:1], v16, s18, 0
	v_add3_u32 v9, v9, v11, v10
	v_lshlrev_b64 v[8:9], 1, v[8:9]
	v_add_co_u32_e32 v8, vcc, v22, v8
	v_addc_co_u32_e32 v9, vcc, v23, v9, vcc
	global_load_ushort v8, v[8:9], off offset:384
	s_waitcnt vmcnt(0)
	v_cmp_neq_f16_e32 vcc, 0, v8
	v_cndmask_b32_e64 v8, 0, 1, vcc
	v_add_co_u32_e32 v6, vcc, v6, v8
	v_addc_co_u32_e32 v7, vcc, 0, v7, vcc
	v_mov_b32_e32 v15, v7
	v_mov_b32_e32 v14, v6
	;; [unrolled: 1-line block ×8, first 2 shown]
.LBB26_131:
	v_mov_b32_e32 v0, v8
	v_mov_b32_e32 v1, v9
	;; [unrolled: 1-line block ×8, first 2 shown]
.LBB26_132:
	s_or_b64 exec, exec, s[2:3]
.LBB26_133:
	s_or_b64 exec, exec, s[4:5]
.LBB26_134:
	v_lshlrev_b32_e32 v8, 5, v28
	v_lshlrev_b32_e32 v9, 3, v29
	s_movk_i32 s0, 0xf800
	v_and_or_b32 v8, v8, s0, v9
	s_movk_i32 s0, 0x100
	v_cmp_gt_u32_e32 vcc, s0, v28
	ds_write2st64_b64 v8, v[0:1], v[2:3] offset1:1
	ds_write2st64_b64 v8, v[4:5], v[6:7] offset0:2 offset1:3
	s_waitcnt lgkmcnt(0)
	s_barrier
	s_and_saveexec_b64 s[0:1], vcc
	s_cbranch_execz .LBB26_137
; %bb.135:
	v_lshlrev_b32_e32 v10, 3, v28
	ds_read2st64_b64 v[2:5], v10 offset1:4
	ds_read2st64_b64 v[6:9], v10 offset0:8 offset1:12
	v_add_co_u32_e32 v0, vcc, s33, v28
	v_addc_co_u32_e64 v1, s[0:1], 0, 0, vcc
	s_waitcnt lgkmcnt(1)
	v_add_co_u32_e32 v2, vcc, v2, v4
	v_addc_co_u32_e32 v3, vcc, v3, v5, vcc
	s_waitcnt lgkmcnt(0)
	v_add_co_u32_e32 v6, vcc, v2, v6
	v_addc_co_u32_e32 v7, vcc, v3, v7, vcc
	ds_read2st64_b64 v[2:5], v10 offset0:16 offset1:20
	v_add_co_u32_e32 v6, vcc, v6, v8
	v_addc_co_u32_e32 v7, vcc, v7, v9, vcc
	s_waitcnt lgkmcnt(0)
	v_add_co_u32_e32 v2, vcc, v6, v2
	v_addc_co_u32_e32 v3, vcc, v7, v3, vcc
	ds_read2st64_b64 v[6:9], v10 offset0:24 offset1:28
	;; [unrolled: 6-line block ×6, first 2 shown]
	v_add_co_u32_e32 v2, vcc, v2, v4
	v_addc_co_u32_e32 v3, vcc, v3, v5, vcc
	s_waitcnt lgkmcnt(0)
	v_add_co_u32_e32 v2, vcc, v2, v6
	v_addc_co_u32_e32 v3, vcc, v3, v7, vcc
	v_add_co_u32_e32 v2, vcc, v2, v8
	v_addc_co_u32_e32 v3, vcc, v3, v9, vcc
	v_cmp_gt_i64_e32 vcc, s[12:13], v[0:1]
	ds_write_b64 v10, v[2:3]
	s_and_b64 exec, exec, vcc
	s_cbranch_execz .LBB26_137
; %bb.136:
	v_lshlrev_b64 v[0:1], 3, v[0:1]
	v_mov_b32_e32 v4, s21
	v_add_co_u32_e32 v0, vcc, s20, v0
	v_addc_co_u32_e32 v1, vcc, v4, v1, vcc
	global_store_dwordx2 v[0:1], v[2:3], off
.LBB26_137:
	s_endpgm
	.section	.rodata,"a",@progbits
	.p2align	6, 0x0
	.amdhsa_kernel _ZN9rocsparseL14nnz_kernel_rowILi64ELi16EllDF16_EEv16rocsparse_order_T2_S2_PKT3_lPT1_
		.amdhsa_group_segment_fixed_size 32768
		.amdhsa_private_segment_fixed_size 0
		.amdhsa_kernarg_size 304
		.amdhsa_user_sgpr_count 6
		.amdhsa_user_sgpr_private_segment_buffer 1
		.amdhsa_user_sgpr_dispatch_ptr 0
		.amdhsa_user_sgpr_queue_ptr 0
		.amdhsa_user_sgpr_kernarg_segment_ptr 1
		.amdhsa_user_sgpr_dispatch_id 0
		.amdhsa_user_sgpr_flat_scratch_init 0
		.amdhsa_user_sgpr_private_segment_size 0
		.amdhsa_uses_dynamic_stack 0
		.amdhsa_system_sgpr_private_segment_wavefront_offset 0
		.amdhsa_system_sgpr_workgroup_id_x 1
		.amdhsa_system_sgpr_workgroup_id_y 0
		.amdhsa_system_sgpr_workgroup_id_z 0
		.amdhsa_system_sgpr_workgroup_info 0
		.amdhsa_system_vgpr_workitem_id 1
		.amdhsa_next_free_vgpr 39
		.amdhsa_next_free_sgpr 61
		.amdhsa_reserve_vcc 1
		.amdhsa_reserve_flat_scratch 0
		.amdhsa_float_round_mode_32 0
		.amdhsa_float_round_mode_16_64 0
		.amdhsa_float_denorm_mode_32 3
		.amdhsa_float_denorm_mode_16_64 3
		.amdhsa_dx10_clamp 1
		.amdhsa_ieee_mode 1
		.amdhsa_fp16_overflow 0
		.amdhsa_exception_fp_ieee_invalid_op 0
		.amdhsa_exception_fp_denorm_src 0
		.amdhsa_exception_fp_ieee_div_zero 0
		.amdhsa_exception_fp_ieee_overflow 0
		.amdhsa_exception_fp_ieee_underflow 0
		.amdhsa_exception_fp_ieee_inexact 0
		.amdhsa_exception_int_div_zero 0
	.end_amdhsa_kernel
	.section	.text._ZN9rocsparseL14nnz_kernel_rowILi64ELi16EllDF16_EEv16rocsparse_order_T2_S2_PKT3_lPT1_,"axG",@progbits,_ZN9rocsparseL14nnz_kernel_rowILi64ELi16EllDF16_EEv16rocsparse_order_T2_S2_PKT3_lPT1_,comdat
.Lfunc_end26:
	.size	_ZN9rocsparseL14nnz_kernel_rowILi64ELi16EllDF16_EEv16rocsparse_order_T2_S2_PKT3_lPT1_, .Lfunc_end26-_ZN9rocsparseL14nnz_kernel_rowILi64ELi16EllDF16_EEv16rocsparse_order_T2_S2_PKT3_lPT1_
                                        ; -- End function
	.set _ZN9rocsparseL14nnz_kernel_rowILi64ELi16EllDF16_EEv16rocsparse_order_T2_S2_PKT3_lPT1_.num_vgpr, 39
	.set _ZN9rocsparseL14nnz_kernel_rowILi64ELi16EllDF16_EEv16rocsparse_order_T2_S2_PKT3_lPT1_.num_agpr, 0
	.set _ZN9rocsparseL14nnz_kernel_rowILi64ELi16EllDF16_EEv16rocsparse_order_T2_S2_PKT3_lPT1_.numbered_sgpr, 39
	.set _ZN9rocsparseL14nnz_kernel_rowILi64ELi16EllDF16_EEv16rocsparse_order_T2_S2_PKT3_lPT1_.num_named_barrier, 0
	.set _ZN9rocsparseL14nnz_kernel_rowILi64ELi16EllDF16_EEv16rocsparse_order_T2_S2_PKT3_lPT1_.private_seg_size, 0
	.set _ZN9rocsparseL14nnz_kernel_rowILi64ELi16EllDF16_EEv16rocsparse_order_T2_S2_PKT3_lPT1_.uses_vcc, 1
	.set _ZN9rocsparseL14nnz_kernel_rowILi64ELi16EllDF16_EEv16rocsparse_order_T2_S2_PKT3_lPT1_.uses_flat_scratch, 0
	.set _ZN9rocsparseL14nnz_kernel_rowILi64ELi16EllDF16_EEv16rocsparse_order_T2_S2_PKT3_lPT1_.has_dyn_sized_stack, 0
	.set _ZN9rocsparseL14nnz_kernel_rowILi64ELi16EllDF16_EEv16rocsparse_order_T2_S2_PKT3_lPT1_.has_recursion, 0
	.set _ZN9rocsparseL14nnz_kernel_rowILi64ELi16EllDF16_EEv16rocsparse_order_T2_S2_PKT3_lPT1_.has_indirect_call, 0
	.section	.AMDGPU.csdata,"",@progbits
; Kernel info:
; codeLenInByte = 7264
; TotalNumSgprs: 43
; NumVgprs: 39
; ScratchSize: 0
; MemoryBound: 0
; FloatMode: 240
; IeeeMode: 1
; LDSByteSize: 32768 bytes/workgroup (compile time only)
; SGPRBlocks: 8
; VGPRBlocks: 9
; NumSGPRsForWavesPerEU: 65
; NumVGPRsForWavesPerEU: 39
; Occupancy: 6
; WaveLimiterHint : 0
; COMPUTE_PGM_RSRC2:SCRATCH_EN: 0
; COMPUTE_PGM_RSRC2:USER_SGPR: 6
; COMPUTE_PGM_RSRC2:TRAP_HANDLER: 0
; COMPUTE_PGM_RSRC2:TGID_X_EN: 1
; COMPUTE_PGM_RSRC2:TGID_Y_EN: 0
; COMPUTE_PGM_RSRC2:TGID_Z_EN: 0
; COMPUTE_PGM_RSRC2:TIDIG_COMP_CNT: 1
	.section	.text._ZN9rocsparseL14nnz_kernel_colILi256EllDF16_EEv16rocsparse_order_T1_S2_PKT2_lPT0_,"axG",@progbits,_ZN9rocsparseL14nnz_kernel_colILi256EllDF16_EEv16rocsparse_order_T1_S2_PKT2_lPT0_,comdat
	.globl	_ZN9rocsparseL14nnz_kernel_colILi256EllDF16_EEv16rocsparse_order_T1_S2_PKT2_lPT0_ ; -- Begin function _ZN9rocsparseL14nnz_kernel_colILi256EllDF16_EEv16rocsparse_order_T1_S2_PKT2_lPT0_
	.p2align	8
	.type	_ZN9rocsparseL14nnz_kernel_colILi256EllDF16_EEv16rocsparse_order_T1_S2_PKT2_lPT0_,@function
_ZN9rocsparseL14nnz_kernel_colILi256EllDF16_EEv16rocsparse_order_T1_S2_PKT2_lPT0_: ; @_ZN9rocsparseL14nnz_kernel_colILi256EllDF16_EEv16rocsparse_order_T1_S2_PKT2_lPT0_
; %bb.0:
	s_load_dwordx2 s[12:13], s[4:5], 0x8
	s_load_dword s0, s[4:5], 0x0
	s_load_dwordx4 s[8:11], s[4:5], 0x18
	s_mov_b32 s7, 0
	v_mov_b32_e32 v1, 0
	s_waitcnt lgkmcnt(0)
	s_ashr_i32 s1, s13, 31
	s_lshr_b32 s1, s1, 24
	s_add_u32 s1, s12, s1
	s_addc_u32 s15, s13, 0
	s_and_b32 s14, s1, 0xffffff00
	s_cmp_eq_u32 s0, 1
	s_cbranch_scc1 .LBB27_6
; %bb.1:
	v_mov_b32_e32 v2, 0x100
	v_mov_b32_e32 v3, 0
	v_cmp_lt_i64_e32 vcc, s[12:13], v[2:3]
	v_mov_b32_e32 v2, 0
	v_mov_b32_e32 v3, 0
	s_cbranch_vccnz .LBB27_7
; %bb.2:
	v_mad_u64_u32 v[2:3], s[0:1], s10, v0, 0
	s_lshl_b64 s[0:1], s[6:7], 1
	s_add_u32 s0, s8, s0
	v_mad_u64_u32 v[3:4], s[2:3], s11, v0, v[3:4]
	s_addc_u32 s1, s9, s1
	v_mov_b32_e32 v5, s1
	v_lshlrev_b64 v[2:3], 1, v[2:3]
	s_lshl_b64 s[2:3], s[10:11], 9
	v_add_co_u32_e32 v4, vcc, s0, v2
	v_addc_co_u32_e32 v5, vcc, v5, v3, vcc
	v_mov_b32_e32 v2, 0
	v_mov_b32_e32 v6, s14
	s_mov_b64 s[16:17], 0
	v_mov_b32_e32 v3, 0
	v_mov_b32_e32 v8, s3
	;; [unrolled: 1-line block ×3, first 2 shown]
	s_branch .LBB27_4
.LBB27_3:                               ;   in Loop: Header=BB27_4 Depth=1
	s_or_b64 exec, exec, s[0:1]
	s_add_u32 s16, s16, 0x100
	s_addc_u32 s17, s17, 0
	v_cmp_ge_i64_e32 vcc, s[16:17], v[6:7]
	v_add_co_u32_e64 v4, s[0:1], s2, v4
	v_addc_co_u32_e64 v5, s[0:1], v5, v8, s[0:1]
	s_cbranch_vccnz .LBB27_7
.LBB27_4:                               ; =>This Inner Loop Header: Depth=1
	v_mov_b32_e32 v10, s17
	v_add_co_u32_e32 v9, vcc, s16, v0
	v_addc_co_u32_e32 v10, vcc, 0, v10, vcc
	v_cmp_gt_i64_e32 vcc, s[12:13], v[9:10]
	s_and_saveexec_b64 s[0:1], vcc
	s_cbranch_execz .LBB27_3
; %bb.5:                                ;   in Loop: Header=BB27_4 Depth=1
	global_load_ushort v9, v[4:5], off
	s_waitcnt vmcnt(0)
	v_cmp_neq_f16_e32 vcc, 0, v9
	v_cndmask_b32_e64 v9, 0, 1, vcc
	v_add_co_u32_e32 v2, vcc, v2, v9
	v_addc_co_u32_e32 v3, vcc, 0, v3, vcc
	s_branch .LBB27_3
.LBB27_6:
                                        ; implicit-def: $vgpr2_vgpr3
	s_load_dwordx2 s[2:3], s[4:5], 0x28
	s_cbranch_execnz .LBB27_10
	s_branch .LBB27_16
.LBB27_7:
	v_mov_b32_e32 v5, s15
	v_add_co_u32_e32 v4, vcc, s14, v0
	v_addc_co_u32_e32 v5, vcc, 0, v5, vcc
	v_cmp_gt_i64_e32 vcc, s[12:13], v[4:5]
	s_and_saveexec_b64 s[0:1], vcc
	s_cbranch_execz .LBB27_9
; %bb.8:
	v_mul_lo_u32 v6, v5, s10
	v_mul_lo_u32 v7, v4, s11
	v_mad_u64_u32 v[4:5], s[2:3], v4, s10, 0
	s_lshl_b64 s[2:3], s[6:7], 1
	v_add3_u32 v5, v5, v7, v6
	v_lshlrev_b64 v[4:5], 1, v[4:5]
	v_mov_b32_e32 v6, s9
	v_add_co_u32_e32 v4, vcc, s8, v4
	v_addc_co_u32_e32 v5, vcc, v6, v5, vcc
	v_mov_b32_e32 v6, s3
	v_add_co_u32_e32 v4, vcc, s2, v4
	v_addc_co_u32_e32 v5, vcc, v5, v6, vcc
	global_load_ushort v4, v[4:5], off
	s_waitcnt vmcnt(0)
	v_cmp_neq_f16_e32 vcc, 0, v4
	v_cndmask_b32_e64 v4, 0, 1, vcc
	v_add_co_u32_e32 v2, vcc, v2, v4
	v_addc_co_u32_e32 v3, vcc, 0, v3, vcc
.LBB27_9:
	s_or_b64 exec, exec, s[0:1]
	s_load_dwordx2 s[2:3], s[4:5], 0x28
	s_branch .LBB27_16
.LBB27_10:
	s_mul_i32 s0, s11, s6
	s_mul_hi_u32 s1, s10, s6
	s_add_i32 s1, s1, s0
	s_mul_i32 s0, s10, s6
	v_cmp_gt_i64_e32 vcc, s[12:13], v[0:1]
	s_lshl_b64 s[0:1], s[0:1], 1
	s_add_u32 s0, s8, s0
	v_cndmask_b32_e32 v1, 0, v0, vcc
	s_addc_u32 s1, s9, s1
	v_lshlrev_b32_e32 v3, 1, v1
	v_mov_b32_e32 v5, s1
	v_mov_b32_e32 v1, 0x100
	v_add_co_u32_e32 v4, vcc, s0, v3
	v_mov_b32_e32 v2, 0
	v_addc_co_u32_e32 v5, vcc, 0, v5, vcc
	v_cmp_lt_i64_e32 vcc, s[12:13], v[1:2]
	v_mov_b32_e32 v2, 0
	v_mov_b32_e32 v3, 0
	s_cbranch_vccnz .LBB27_13
; %bb.11:
	v_mov_b32_e32 v2, 0
	v_mov_b32_e32 v6, s14
	;; [unrolled: 1-line block ×3, first 2 shown]
	s_mov_b64 s[4:5], 0
	v_mov_b32_e32 v3, 0
	v_mov_b32_e32 v7, s15
	;; [unrolled: 1-line block ×3, first 2 shown]
.LBB27_12:                              ; =>This Inner Loop Header: Depth=1
	global_load_ushort v1, v[8:9], off
	s_add_u32 s4, s4, 0x100
	v_add_co_u32_e32 v8, vcc, 0x200, v8
	s_addc_u32 s5, s5, 0
	v_addc_co_u32_e32 v9, vcc, 0, v9, vcc
	v_cmp_ge_i64_e32 vcc, s[4:5], v[6:7]
	s_and_b64 vcc, exec, vcc
	s_waitcnt vmcnt(0)
	v_cmp_neq_f16_e64 s[0:1], 0, v1
	v_cndmask_b32_e64 v1, 0, 1, s[0:1]
	v_add_co_u32_e64 v2, s[0:1], v2, v1
	v_addc_co_u32_e64 v3, s[0:1], 0, v3, s[0:1]
	s_cbranch_vccz .LBB27_12
.LBB27_13:
	v_mov_b32_e32 v1, s15
	v_add_co_u32_e32 v6, vcc, s14, v0
	v_addc_co_u32_e32 v7, vcc, 0, v1, vcc
	v_cmp_gt_i64_e32 vcc, s[12:13], v[6:7]
	s_and_saveexec_b64 s[0:1], vcc
	s_cbranch_execz .LBB27_15
; %bb.14:
	s_lshl_b64 s[4:5], s[14:15], 1
	v_mov_b32_e32 v1, s5
	v_add_co_u32_e32 v4, vcc, s4, v4
	v_addc_co_u32_e32 v5, vcc, v5, v1, vcc
	global_load_ushort v1, v[4:5], off
	s_waitcnt vmcnt(0)
	v_cmp_neq_f16_e32 vcc, 0, v1
	v_cndmask_b32_e64 v1, 0, 1, vcc
	v_add_co_u32_e32 v2, vcc, v2, v1
	v_addc_co_u32_e32 v3, vcc, 0, v3, vcc
.LBB27_15:
	s_or_b64 exec, exec, s[0:1]
.LBB27_16:
	v_mov_b32_e32 v5, 0x100
	v_mov_b32_e32 v6, 0
	v_cmp_lt_i64_e32 vcc, s[12:13], v[5:6]
	v_lshlrev_b32_e32 v4, 3, v0
	s_mov_b64 s[4:5], -1
	v_cmp_eq_u32_e64 s[0:1], 0, v0
	ds_write_b64 v4, v[2:3]
	s_waitcnt lgkmcnt(0)
	s_cbranch_vccnz .LBB27_20
; %bb.17:
	s_and_b64 vcc, exec, s[4:5]
	s_cbranch_vccnz .LBB27_29
.LBB27_18:
	v_cmp_eq_u32_e32 vcc, 0, v0
	s_and_saveexec_b64 s[0:1], vcc
	s_cbranch_execnz .LBB27_46
.LBB27_19:
	s_endpgm
.LBB27_20:
	v_cmp_gt_i64_e64 s[4:5], s[12:13], 1
	s_mov_b64 s[8:9], 1
	s_and_b64 s[4:5], s[0:1], s[4:5]
	s_barrier
	s_and_saveexec_b64 s[0:1], s[4:5]
	s_cbranch_execz .LBB27_28
; %bb.21:
	s_add_u32 s9, s12, -1
	v_mov_b32_e32 v1, 0
	s_addc_u32 s5, s13, -1
	ds_read_b64 v[1:2], v1
	s_add_u32 s10, s12, -2
	s_addc_u32 s11, s13, -1
	v_cmp_lt_u64_e64 s[10:11], s[10:11], 7
	s_and_b64 vcc, exec, s[10:11]
	s_cbranch_vccnz .LBB27_24
; %bb.22:
	s_and_b32 s4, s9, -8
	s_mov_b64 s[10:11], 0
	s_mov_b32 s12, 8
.LBB27_23:                              ; =>This Inner Loop Header: Depth=1
	v_mov_b32_e32 v3, s12
	ds_read2_b64 v[5:8], v3 offset1:1
	ds_read2_b64 v[9:12], v3 offset0:2 offset1:3
	ds_read2_b64 v[13:16], v3 offset0:4 offset1:5
	;; [unrolled: 1-line block ×3, first 2 shown]
	s_add_u32 s14, s10, 8
	s_waitcnt lgkmcnt(3)
	v_add_co_u32_e32 v1, vcc, v1, v5
	v_addc_co_u32_e32 v2, vcc, v2, v6, vcc
	v_add_co_u32_e32 v1, vcc, v1, v7
	v_addc_co_u32_e32 v2, vcc, v2, v8, vcc
	s_waitcnt lgkmcnt(2)
	v_add_co_u32_e32 v1, vcc, v1, v9
	v_addc_co_u32_e32 v2, vcc, v2, v10, vcc
	v_add_co_u32_e32 v1, vcc, v1, v11
	v_addc_co_u32_e32 v2, vcc, v2, v12, vcc
	;; [unrolled: 5-line block ×3, first 2 shown]
	s_waitcnt lgkmcnt(0)
	v_add_co_u32_e32 v1, vcc, v1, v17
	v_addc_co_u32_e32 v2, vcc, v2, v18, vcc
	s_addc_u32 s15, s11, 0
	s_add_i32 s12, s12, 64
	s_add_u32 s8, s10, 9
	v_add_co_u32_e32 v1, vcc, v1, v19
	s_cmp_lg_u64 s[4:5], s[14:15]
	s_mov_b64 s[10:11], s[14:15]
	v_addc_co_u32_e32 v2, vcc, v2, v20, vcc
	s_cbranch_scc1 .LBB27_23
.LBB27_24:
	s_and_b32 s4, s9, 7
	s_mov_b32 s5, 0
	s_cmp_eq_u64 s[4:5], 0
	s_cbranch_scc1 .LBB27_27
; %bb.25:
	s_lshl_b32 s8, s8, 3
.LBB27_26:                              ; =>This Inner Loop Header: Depth=1
	v_mov_b32_e32 v3, s8
	ds_read_b64 v[5:6], v3
	s_add_i32 s8, s8, 8
	s_add_u32 s4, s4, -1
	s_addc_u32 s5, s5, -1
	s_cmp_lg_u64 s[4:5], 0
	s_waitcnt lgkmcnt(0)
	v_add_co_u32_e32 v1, vcc, v1, v5
	v_addc_co_u32_e32 v2, vcc, v2, v6, vcc
	s_cbranch_scc1 .LBB27_26
.LBB27_27:
	v_mov_b32_e32 v3, 0
	s_waitcnt lgkmcnt(0)
	ds_write_b64 v3, v[1:2]
.LBB27_28:
	s_or_b64 exec, exec, s[0:1]
	s_waitcnt lgkmcnt(0)
	s_barrier
	s_branch .LBB27_18
.LBB27_29:
	s_movk_i32 s0, 0x80
	v_cmp_gt_u32_e32 vcc, s0, v0
	s_barrier
	s_and_saveexec_b64 s[0:1], vcc
	s_cbranch_execz .LBB27_31
; %bb.30:
	ds_read2st64_b64 v[5:8], v4 offset1:2
	s_waitcnt lgkmcnt(0)
	v_add_co_u32_e32 v1, vcc, v5, v7
	v_addc_co_u32_e32 v2, vcc, v6, v8, vcc
	ds_write_b64 v4, v[1:2]
.LBB27_31:
	s_or_b64 exec, exec, s[0:1]
	v_cmp_gt_u32_e32 vcc, 64, v0
	s_waitcnt lgkmcnt(0)
	s_barrier
	s_and_saveexec_b64 s[0:1], vcc
	s_cbranch_execz .LBB27_33
; %bb.32:
	ds_read2st64_b64 v[5:8], v4 offset1:1
	s_waitcnt lgkmcnt(0)
	v_add_co_u32_e32 v1, vcc, v5, v7
	v_addc_co_u32_e32 v2, vcc, v6, v8, vcc
	ds_write_b64 v4, v[1:2]
.LBB27_33:
	s_or_b64 exec, exec, s[0:1]
	v_cmp_gt_u32_e32 vcc, 32, v0
	s_waitcnt lgkmcnt(0)
	s_barrier
	s_and_saveexec_b64 s[0:1], vcc
	s_cbranch_execz .LBB27_35
; %bb.34:
	ds_read2_b64 v[5:8], v4 offset1:32
	s_waitcnt lgkmcnt(0)
	v_add_co_u32_e32 v1, vcc, v5, v7
	v_addc_co_u32_e32 v2, vcc, v6, v8, vcc
	ds_write_b64 v4, v[1:2]
.LBB27_35:
	s_or_b64 exec, exec, s[0:1]
	v_cmp_gt_u32_e32 vcc, 16, v0
	s_waitcnt lgkmcnt(0)
	s_barrier
	s_and_saveexec_b64 s[0:1], vcc
	s_cbranch_execz .LBB27_37
; %bb.36:
	ds_read2_b64 v[5:8], v4 offset1:16
	s_waitcnt lgkmcnt(0)
	v_add_co_u32_e32 v1, vcc, v5, v7
	v_addc_co_u32_e32 v2, vcc, v6, v8, vcc
	ds_write_b64 v4, v[1:2]
.LBB27_37:
	;; [unrolled: 13-line block ×5, first 2 shown]
	s_or_b64 exec, exec, s[0:1]
	v_cmp_eq_u32_e32 vcc, 0, v0
	s_waitcnt lgkmcnt(0)
	s_barrier
	s_and_saveexec_b64 s[0:1], vcc
	s_cbranch_execz .LBB27_45
; %bb.44:
	v_mov_b32_e32 v5, 0
	ds_read_b128 v[1:4], v5
	s_waitcnt lgkmcnt(0)
	v_add_co_u32_e32 v1, vcc, v1, v3
	v_addc_co_u32_e32 v2, vcc, v2, v4, vcc
	ds_write_b64 v5, v[1:2]
.LBB27_45:
	s_or_b64 exec, exec, s[0:1]
	s_waitcnt lgkmcnt(0)
	s_barrier
	v_cmp_eq_u32_e32 vcc, 0, v0
	s_and_saveexec_b64 s[0:1], vcc
	s_cbranch_execz .LBB27_19
.LBB27_46:
	v_mov_b32_e32 v2, 0
	ds_read_b64 v[0:1], v2
	s_lshl_b64 s[0:1], s[6:7], 3
	s_add_u32 s0, s2, s0
	s_addc_u32 s1, s3, s1
	s_waitcnt lgkmcnt(0)
	global_store_dwordx2 v2, v[0:1], s[0:1]
	s_endpgm
	.section	.rodata,"a",@progbits
	.p2align	6, 0x0
	.amdhsa_kernel _ZN9rocsparseL14nnz_kernel_colILi256EllDF16_EEv16rocsparse_order_T1_S2_PKT2_lPT0_
		.amdhsa_group_segment_fixed_size 2048
		.amdhsa_private_segment_fixed_size 0
		.amdhsa_kernarg_size 48
		.amdhsa_user_sgpr_count 6
		.amdhsa_user_sgpr_private_segment_buffer 1
		.amdhsa_user_sgpr_dispatch_ptr 0
		.amdhsa_user_sgpr_queue_ptr 0
		.amdhsa_user_sgpr_kernarg_segment_ptr 1
		.amdhsa_user_sgpr_dispatch_id 0
		.amdhsa_user_sgpr_flat_scratch_init 0
		.amdhsa_user_sgpr_private_segment_size 0
		.amdhsa_uses_dynamic_stack 0
		.amdhsa_system_sgpr_private_segment_wavefront_offset 0
		.amdhsa_system_sgpr_workgroup_id_x 1
		.amdhsa_system_sgpr_workgroup_id_y 0
		.amdhsa_system_sgpr_workgroup_id_z 0
		.amdhsa_system_sgpr_workgroup_info 0
		.amdhsa_system_vgpr_workitem_id 0
		.amdhsa_next_free_vgpr 21
		.amdhsa_next_free_sgpr 18
		.amdhsa_reserve_vcc 1
		.amdhsa_reserve_flat_scratch 0
		.amdhsa_float_round_mode_32 0
		.amdhsa_float_round_mode_16_64 0
		.amdhsa_float_denorm_mode_32 3
		.amdhsa_float_denorm_mode_16_64 3
		.amdhsa_dx10_clamp 1
		.amdhsa_ieee_mode 1
		.amdhsa_fp16_overflow 0
		.amdhsa_exception_fp_ieee_invalid_op 0
		.amdhsa_exception_fp_denorm_src 0
		.amdhsa_exception_fp_ieee_div_zero 0
		.amdhsa_exception_fp_ieee_overflow 0
		.amdhsa_exception_fp_ieee_underflow 0
		.amdhsa_exception_fp_ieee_inexact 0
		.amdhsa_exception_int_div_zero 0
	.end_amdhsa_kernel
	.section	.text._ZN9rocsparseL14nnz_kernel_colILi256EllDF16_EEv16rocsparse_order_T1_S2_PKT2_lPT0_,"axG",@progbits,_ZN9rocsparseL14nnz_kernel_colILi256EllDF16_EEv16rocsparse_order_T1_S2_PKT2_lPT0_,comdat
.Lfunc_end27:
	.size	_ZN9rocsparseL14nnz_kernel_colILi256EllDF16_EEv16rocsparse_order_T1_S2_PKT2_lPT0_, .Lfunc_end27-_ZN9rocsparseL14nnz_kernel_colILi256EllDF16_EEv16rocsparse_order_T1_S2_PKT2_lPT0_
                                        ; -- End function
	.set _ZN9rocsparseL14nnz_kernel_colILi256EllDF16_EEv16rocsparse_order_T1_S2_PKT2_lPT0_.num_vgpr, 21
	.set _ZN9rocsparseL14nnz_kernel_colILi256EllDF16_EEv16rocsparse_order_T1_S2_PKT2_lPT0_.num_agpr, 0
	.set _ZN9rocsparseL14nnz_kernel_colILi256EllDF16_EEv16rocsparse_order_T1_S2_PKT2_lPT0_.numbered_sgpr, 18
	.set _ZN9rocsparseL14nnz_kernel_colILi256EllDF16_EEv16rocsparse_order_T1_S2_PKT2_lPT0_.num_named_barrier, 0
	.set _ZN9rocsparseL14nnz_kernel_colILi256EllDF16_EEv16rocsparse_order_T1_S2_PKT2_lPT0_.private_seg_size, 0
	.set _ZN9rocsparseL14nnz_kernel_colILi256EllDF16_EEv16rocsparse_order_T1_S2_PKT2_lPT0_.uses_vcc, 1
	.set _ZN9rocsparseL14nnz_kernel_colILi256EllDF16_EEv16rocsparse_order_T1_S2_PKT2_lPT0_.uses_flat_scratch, 0
	.set _ZN9rocsparseL14nnz_kernel_colILi256EllDF16_EEv16rocsparse_order_T1_S2_PKT2_lPT0_.has_dyn_sized_stack, 0
	.set _ZN9rocsparseL14nnz_kernel_colILi256EllDF16_EEv16rocsparse_order_T1_S2_PKT2_lPT0_.has_recursion, 0
	.set _ZN9rocsparseL14nnz_kernel_colILi256EllDF16_EEv16rocsparse_order_T1_S2_PKT2_lPT0_.has_indirect_call, 0
	.section	.AMDGPU.csdata,"",@progbits
; Kernel info:
; codeLenInByte = 1572
; TotalNumSgprs: 22
; NumVgprs: 21
; ScratchSize: 0
; MemoryBound: 0
; FloatMode: 240
; IeeeMode: 1
; LDSByteSize: 2048 bytes/workgroup (compile time only)
; SGPRBlocks: 2
; VGPRBlocks: 5
; NumSGPRsForWavesPerEU: 22
; NumVGPRsForWavesPerEU: 21
; Occupancy: 10
; WaveLimiterHint : 0
; COMPUTE_PGM_RSRC2:SCRATCH_EN: 0
; COMPUTE_PGM_RSRC2:USER_SGPR: 6
; COMPUTE_PGM_RSRC2:TRAP_HANDLER: 0
; COMPUTE_PGM_RSRC2:TGID_X_EN: 1
; COMPUTE_PGM_RSRC2:TGID_Y_EN: 0
; COMPUTE_PGM_RSRC2:TGID_Z_EN: 0
; COMPUTE_PGM_RSRC2:TIDIG_COMP_CNT: 0
	.section	.text._ZN9rocsparseL14nnz_kernel_rowILi64ELi16EllfEEv16rocsparse_order_T2_S2_PKT3_lPT1_,"axG",@progbits,_ZN9rocsparseL14nnz_kernel_rowILi64ELi16EllfEEv16rocsparse_order_T2_S2_PKT3_lPT1_,comdat
	.globl	_ZN9rocsparseL14nnz_kernel_rowILi64ELi16EllfEEv16rocsparse_order_T2_S2_PKT3_lPT1_ ; -- Begin function _ZN9rocsparseL14nnz_kernel_rowILi64ELi16EllfEEv16rocsparse_order_T2_S2_PKT3_lPT1_
	.p2align	8
	.type	_ZN9rocsparseL14nnz_kernel_rowILi64ELi16EllfEEv16rocsparse_order_T2_S2_PKT3_lPT1_,@function
_ZN9rocsparseL14nnz_kernel_rowILi64ELi16EllfEEv16rocsparse_order_T2_S2_PKT3_lPT1_: ; @_ZN9rocsparseL14nnz_kernel_rowILi64ELi16EllfEEv16rocsparse_order_T2_S2_PKT3_lPT1_
; %bb.0:
	s_load_dword s0, s[4:5], 0x3c
	s_load_dwordx2 s[20:21], s[4:5], 0x28
	s_load_dword s38, s[4:5], 0x0
	s_load_dwordx8 s[12:19], s[4:5], 0x8
	s_lshl_b32 s33, s6, 8
	s_waitcnt lgkmcnt(0)
	s_and_b32 s0, s0, 0xffff
	v_mad_u32_u24 v28, v1, s0, v0
	v_mov_b32_e32 v19, 0
	s_ashr_i32 s0, s15, 31
	s_lshr_b32 s0, s0, 26
	s_add_u32 s0, s14, s0
	v_lshrrev_b32_e32 v0, 4, v28
	v_and_b32_e32 v29, 63, v28
	s_addc_u32 s25, s15, 0
	s_and_b32 s24, s0, 0xffffffc0
	v_and_b32_e32 v16, 0x7ffffc, v0
	v_mov_b32_e32 v17, v19
	v_or_b32_e32 v18, s33, v29
	s_sub_u32 s22, s14, s24
	v_cmp_gt_i64_e32 vcc, s[24:25], v[16:17]
	s_subb_u32 s23, s15, s25
	v_mov_b32_e32 v0, v19
	v_mov_b32_e32 v1, v19
	;; [unrolled: 1-line block ×8, first 2 shown]
	v_or_b32_e32 v20, 64, v18
	s_and_saveexec_b64 s[26:27], vcc
	s_cbranch_execz .LBB28_28
; %bb.1:
	v_or_b32_e32 v0, 0x80, v18
	v_mov_b32_e32 v1, v19
	v_cmp_gt_i64_e64 s[0:1], s[12:13], v[0:1]
	v_add_co_u32_e32 v0, vcc, s33, v29
	v_addc_co_u32_e64 v1, s[2:3], 0, 0, vcc
	v_mul_lo_u32 v6, s19, v0
	v_mul_lo_u32 v7, s18, v1
	v_mad_u64_u32 v[2:3], s[2:3], s18, v0, 0
	v_or_b32_e32 v4, 0xc0, v18
	v_mov_b32_e32 v5, v19
	v_cmp_gt_i64_e64 s[2:3], s[12:13], v[4:5]
	v_add_co_u32_e32 v4, vcc, 64, v0
	v_addc_co_u32_e32 v5, vcc, 0, v1, vcc
	v_add3_u32 v3, v3, v7, v6
	v_mul_lo_u32 v7, s19, v4
	v_mul_lo_u32 v9, s18, v5
	v_mad_u64_u32 v[4:5], s[4:5], s18, v4, 0
	v_lshlrev_b64 v[2:3], 2, v[2:3]
	v_lshrrev_b32_e32 v6, 6, v28
	v_lshlrev_b32_e32 v8, 4, v6
	v_add_co_u32_e32 v26, vcc, v2, v8
	s_movk_i32 s6, 0x80
	v_addc_co_u32_e32 v27, vcc, 0, v3, vcc
	v_add3_u32 v5, v5, v9, v7
	v_lshlrev_b64 v[2:3], 2, v[4:5]
	v_add_co_u32_e32 v4, vcc, s6, v0
	v_addc_co_u32_e32 v5, vcc, 0, v1, vcc
	v_mul_lo_u32 v7, s19, v4
	v_mul_lo_u32 v9, s18, v5
	v_mad_u64_u32 v[4:5], s[4:5], s18, v4, 0
	v_add_co_u32_e32 v30, vcc, v2, v8
	s_movk_i32 s7, 0xc0
	v_addc_co_u32_e32 v31, vcc, 0, v3, vcc
	v_add3_u32 v5, v5, v9, v7
	v_lshlrev_b64 v[2:3], 2, v[4:5]
	v_add_co_u32_e32 v4, vcc, s7, v0
	v_addc_co_u32_e32 v5, vcc, 0, v1, vcc
	v_mul_lo_u32 v7, s19, v4
	v_mul_lo_u32 v9, s18, v5
	v_mad_u64_u32 v[4:5], s[4:5], s18, v4, 0
	v_lshlrev_b64 v[0:1], 2, v[0:1]
	v_or_b32_e32 v10, 12, v8
	v_mad_u64_u32 v[22:23], s[4:5], s18, v10, v[0:1]
	v_add_co_u32_e32 v32, vcc, v2, v8
	v_add3_u32 v5, v5, v9, v7
	v_addc_co_u32_e32 v33, vcc, 0, v3, vcc
	v_lshlrev_b64 v[2:3], 2, v[4:5]
	v_mov_b32_e32 v4, v23
	v_add_co_u32_e32 v34, vcc, v2, v8
	v_or_b32_e32 v7, 8, v8
	v_mad_u64_u32 v[4:5], s[4:5], s19, v10, v[4:5]
	v_addc_co_u32_e32 v35, vcc, 0, v3, vcc
	v_mad_u64_u32 v[2:3], s[4:5], s18, v6, 0
	v_mad_u64_u32 v[23:24], s[4:5], s18, v7, v[0:1]
	;; [unrolled: 1-line block ×3, first 2 shown]
	v_mov_b32_e32 v3, v24
	v_mad_u64_u32 v[6:7], s[4:5], s19, v7, v[3:4]
	v_or_b32_e32 v7, 4, v8
	v_mad_u64_u32 v[24:25], s[4:5], s18, v7, v[0:1]
	v_mov_b32_e32 v36, v4
	v_mov_b32_e32 v3, v5
	;; [unrolled: 1-line block ×3, first 2 shown]
	v_mad_u64_u32 v[4:5], s[4:5], s19, v7, v[4:5]
	v_lshlrev_b64 v[2:3], 4, v[2:3]
	v_mov_b32_e32 v21, v19
	s_cmp_lg_u32 s38, 1
	v_cmp_gt_i64_e64 s[4:5], s[12:13], v[18:19]
	v_cmp_gt_i64_e64 s[6:7], s[12:13], v[20:21]
	v_add_co_u32_e32 v25, vcc, v2, v0
	v_mov_b32_e32 v37, v6
	s_cselect_b64 s[28:29], -1, 0
	s_lshl_b64 s[30:31], s[18:19], 8
	v_mov_b32_e32 v21, v4
	v_addc_co_u32_e32 v38, vcc, v3, v1, vcc
	v_mov_b32_e32 v0, v19
	v_mov_b32_e32 v1, v19
	;; [unrolled: 1-line block ×8, first 2 shown]
	s_mov_b64 s[34:35], 0
	s_branch .LBB28_4
.LBB28_2:                               ;   in Loop: Header=BB28_4 Depth=1
	v_mov_b32_e32 v0, v8
	v_mov_b32_e32 v1, v9
	;; [unrolled: 1-line block ×8, first 2 shown]
.LBB28_3:                               ;   in Loop: Header=BB28_4 Depth=1
	s_or_b64 exec, exec, s[10:11]
	v_add_co_u32_e32 v16, vcc, 64, v16
	v_addc_co_u32_e32 v17, vcc, 0, v17, vcc
	v_add_co_u32_e32 v26, vcc, 0x100, v26
	v_addc_co_u32_e32 v27, vcc, 0, v27, vcc
	;; [unrolled: 2-line block ×5, first 2 shown]
	v_mov_b32_e32 v8, s31
	v_add_co_u32_e32 v22, vcc, s30, v22
	v_addc_co_u32_e32 v36, vcc, v36, v8, vcc
	v_add_co_u32_e32 v23, vcc, s30, v23
	v_addc_co_u32_e32 v37, vcc, v37, v8, vcc
	v_cmp_le_i64_e32 vcc, s[24:25], v[16:17]
	v_add_co_u32_e64 v24, s[8:9], s30, v24
	s_or_b64 s[34:35], vcc, s[34:35]
	v_add_co_u32_e32 v25, vcc, s30, v25
	v_addc_co_u32_e64 v21, s[8:9], v21, v8, s[8:9]
	v_addc_co_u32_e32 v38, vcc, v38, v8, vcc
	s_andn2_b64 exec, exec, s[34:35]
	s_cbranch_execz .LBB28_27
.LBB28_4:                               ; =>This Inner Loop Header: Depth=1
	v_cndmask_b32_e64 v8, 0, 1, s[28:29]
	v_cmp_ne_u32_e64 s[8:9], 1, v8
	s_and_saveexec_b64 s[36:37], s[4:5]
	s_cbranch_execnz .LBB28_8
; %bb.5:                                ;   in Loop: Header=BB28_4 Depth=1
	s_or_b64 exec, exec, s[36:37]
	s_and_saveexec_b64 s[36:37], s[6:7]
	s_cbranch_execnz .LBB28_13
.LBB28_6:                               ;   in Loop: Header=BB28_4 Depth=1
	s_or_b64 exec, exec, s[36:37]
	s_and_saveexec_b64 s[36:37], s[0:1]
	s_cbranch_execnz .LBB28_18
.LBB28_7:                               ;   in Loop: Header=BB28_4 Depth=1
	s_or_b64 exec, exec, s[36:37]
	s_and_saveexec_b64 s[10:11], s[2:3]
	s_cbranch_execz .LBB28_3
	s_branch .LBB28_23
.LBB28_8:                               ;   in Loop: Header=BB28_4 Depth=1
	s_and_b64 vcc, exec, s[8:9]
	s_mov_b64 s[10:11], -1
                                        ; implicit-def: $vgpr8_vgpr9_vgpr10_vgpr11_vgpr12_vgpr13_vgpr14_vgpr15
	s_cbranch_vccnz .LBB28_10
; %bb.9:                                ;   in Loop: Header=BB28_4 Depth=1
	v_add_co_u32_e32 v8, vcc, s16, v26
	v_mov_b32_e32 v9, s17
	v_addc_co_u32_e32 v9, vcc, v9, v27, vcc
	global_load_dwordx4 v[8:11], v[8:9], off
	v_mov_b32_e32 v14, v6
	v_mov_b32_e32 v15, v7
	s_waitcnt vmcnt(0)
	v_cmp_neq_f32_e32 vcc, 0, v8
	v_add_co_u32_e64 v8, s[10:11], 1, v0
	v_addc_co_u32_e64 v12, s[10:11], 0, v1, s[10:11]
	v_cndmask_b32_e32 v8, v0, v8, vcc
	v_cndmask_b32_e32 v12, v1, v12, vcc
	v_cmp_neq_f32_e32 vcc, 0, v9
	v_add_co_u32_e64 v9, s[10:11], 1, v8
	v_addc_co_u32_e64 v13, s[10:11], 0, v12, s[10:11]
	v_cndmask_b32_e32 v8, v8, v9, vcc
	v_cndmask_b32_e32 v12, v12, v13, vcc
	;; [unrolled: 5-line block ×4, first 2 shown]
	v_mov_b32_e32 v10, v2
	v_mov_b32_e32 v11, v3
	v_mov_b32_e32 v12, v4
	v_mov_b32_e32 v13, v5
	s_mov_b64 s[10:11], 0
.LBB28_10:                              ;   in Loop: Header=BB28_4 Depth=1
	s_andn2_b64 vcc, exec, s[10:11]
	s_cbranch_vccnz .LBB28_12
; %bb.11:                               ;   in Loop: Header=BB28_4 Depth=1
	v_mov_b32_e32 v9, s17
	v_add_co_u32_e32 v8, vcc, s16, v25
	v_addc_co_u32_e32 v9, vcc, v9, v38, vcc
	global_load_dword v10, v[8:9], off
	v_mov_b32_e32 v9, s17
	v_add_co_u32_e32 v8, vcc, s16, v24
	v_addc_co_u32_e32 v9, vcc, v9, v21, vcc
	global_load_dword v11, v[8:9], off
	;; [unrolled: 4-line block ×4, first 2 shown]
	v_add_co_u32_e32 v9, vcc, 1, v0
	v_addc_co_u32_e32 v13, vcc, 0, v1, vcc
	s_waitcnt vmcnt(3)
	v_cmp_neq_f32_e32 vcc, 0, v10
	v_cndmask_b32_e32 v0, v0, v9, vcc
	v_cndmask_b32_e32 v1, v1, v13, vcc
	v_add_co_u32_e32 v9, vcc, 1, v0
	v_addc_co_u32_e32 v10, vcc, 0, v1, vcc
	s_waitcnt vmcnt(2)
	v_cmp_neq_f32_e32 vcc, 0, v11
	v_cndmask_b32_e32 v0, v0, v9, vcc
	v_cndmask_b32_e32 v1, v1, v10, vcc
	;; [unrolled: 6-line block ×4, first 2 shown]
	v_mov_b32_e32 v15, v7
	v_mov_b32_e32 v14, v6
	;; [unrolled: 1-line block ×8, first 2 shown]
.LBB28_12:                              ;   in Loop: Header=BB28_4 Depth=1
	v_mov_b32_e32 v0, v8
	v_mov_b32_e32 v1, v9
	;; [unrolled: 1-line block ×8, first 2 shown]
	s_or_b64 exec, exec, s[36:37]
	s_and_saveexec_b64 s[36:37], s[6:7]
	s_cbranch_execz .LBB28_6
.LBB28_13:                              ;   in Loop: Header=BB28_4 Depth=1
	s_and_b64 vcc, exec, s[8:9]
	s_mov_b64 s[10:11], -1
                                        ; implicit-def: $vgpr8_vgpr9_vgpr10_vgpr11_vgpr12_vgpr13_vgpr14_vgpr15
	s_cbranch_vccnz .LBB28_15
; %bb.14:                               ;   in Loop: Header=BB28_4 Depth=1
	v_add_co_u32_e32 v8, vcc, s16, v30
	v_mov_b32_e32 v9, s17
	v_addc_co_u32_e32 v9, vcc, v9, v31, vcc
	global_load_dwordx4 v[8:11], v[8:9], off
	v_mov_b32_e32 v14, v6
	v_mov_b32_e32 v15, v7
	s_waitcnt vmcnt(0)
	v_cmp_neq_f32_e32 vcc, 0, v8
	v_add_co_u32_e64 v8, s[10:11], 1, v2
	v_addc_co_u32_e64 v12, s[10:11], 0, v3, s[10:11]
	v_cndmask_b32_e32 v8, v2, v8, vcc
	v_cndmask_b32_e32 v12, v3, v12, vcc
	v_cmp_neq_f32_e32 vcc, 0, v9
	v_add_co_u32_e64 v9, s[10:11], 1, v8
	v_addc_co_u32_e64 v13, s[10:11], 0, v12, s[10:11]
	v_cndmask_b32_e32 v8, v8, v9, vcc
	v_cndmask_b32_e32 v12, v12, v13, vcc
	v_cmp_neq_f32_e32 vcc, 0, v10
	v_add_co_u32_e64 v9, s[10:11], 1, v8
	v_addc_co_u32_e64 v10, s[10:11], 0, v12, s[10:11]
	v_cndmask_b32_e32 v8, v8, v9, vcc
	v_cndmask_b32_e32 v10, v12, v10, vcc
	v_add_co_u32_e64 v9, s[10:11], 1, v8
	v_cmp_neq_f32_e32 vcc, 0, v11
	v_addc_co_u32_e64 v11, s[10:11], 0, v10, s[10:11]
	v_cndmask_b32_e32 v11, v10, v11, vcc
	v_cndmask_b32_e32 v10, v8, v9, vcc
	v_mov_b32_e32 v8, v0
	v_mov_b32_e32 v9, v1
	;; [unrolled: 1-line block ×4, first 2 shown]
	s_mov_b64 s[10:11], 0
.LBB28_15:                              ;   in Loop: Header=BB28_4 Depth=1
	s_andn2_b64 vcc, exec, s[10:11]
	s_cbranch_vccnz .LBB28_17
; %bb.16:                               ;   in Loop: Header=BB28_4 Depth=1
	v_mov_b32_e32 v9, s17
	v_add_co_u32_e32 v8, vcc, s16, v25
	v_addc_co_u32_e32 v9, vcc, v9, v38, vcc
	global_load_dword v10, v[8:9], off offset:256
	v_mov_b32_e32 v9, s17
	v_add_co_u32_e32 v8, vcc, s16, v24
	v_addc_co_u32_e32 v9, vcc, v9, v21, vcc
	global_load_dword v11, v[8:9], off offset:256
	;; [unrolled: 4-line block ×4, first 2 shown]
	v_add_co_u32_e32 v9, vcc, 1, v2
	v_addc_co_u32_e32 v13, vcc, 0, v3, vcc
	s_waitcnt vmcnt(3)
	v_cmp_neq_f32_e32 vcc, 0, v10
	v_cndmask_b32_e32 v2, v2, v9, vcc
	v_cndmask_b32_e32 v3, v3, v13, vcc
	v_add_co_u32_e32 v9, vcc, 1, v2
	v_addc_co_u32_e32 v10, vcc, 0, v3, vcc
	s_waitcnt vmcnt(2)
	v_cmp_neq_f32_e32 vcc, 0, v11
	v_cndmask_b32_e32 v2, v2, v9, vcc
	v_cndmask_b32_e32 v3, v3, v10, vcc
	;; [unrolled: 6-line block ×4, first 2 shown]
	v_mov_b32_e32 v15, v7
	v_mov_b32_e32 v14, v6
	;; [unrolled: 1-line block ×8, first 2 shown]
.LBB28_17:                              ;   in Loop: Header=BB28_4 Depth=1
	v_mov_b32_e32 v0, v8
	v_mov_b32_e32 v1, v9
	;; [unrolled: 1-line block ×8, first 2 shown]
	s_or_b64 exec, exec, s[36:37]
	s_and_saveexec_b64 s[36:37], s[0:1]
	s_cbranch_execz .LBB28_7
.LBB28_18:                              ;   in Loop: Header=BB28_4 Depth=1
	s_and_b64 vcc, exec, s[8:9]
	s_mov_b64 s[10:11], -1
                                        ; implicit-def: $vgpr8_vgpr9_vgpr10_vgpr11_vgpr12_vgpr13_vgpr14_vgpr15
	s_cbranch_vccnz .LBB28_20
; %bb.19:                               ;   in Loop: Header=BB28_4 Depth=1
	v_add_co_u32_e32 v8, vcc, s16, v32
	v_mov_b32_e32 v9, s17
	v_addc_co_u32_e32 v9, vcc, v9, v33, vcc
	global_load_dwordx4 v[8:11], v[8:9], off
	v_mov_b32_e32 v14, v6
	v_mov_b32_e32 v15, v7
	s_waitcnt vmcnt(0)
	v_cmp_neq_f32_e32 vcc, 0, v8
	v_add_co_u32_e64 v8, s[10:11], 1, v4
	v_addc_co_u32_e64 v12, s[10:11], 0, v5, s[10:11]
	v_cndmask_b32_e32 v8, v4, v8, vcc
	v_cndmask_b32_e32 v12, v5, v12, vcc
	v_cmp_neq_f32_e32 vcc, 0, v9
	v_add_co_u32_e64 v9, s[10:11], 1, v8
	v_addc_co_u32_e64 v13, s[10:11], 0, v12, s[10:11]
	v_cndmask_b32_e32 v8, v8, v9, vcc
	v_cndmask_b32_e32 v12, v12, v13, vcc
	;; [unrolled: 5-line block ×3, first 2 shown]
	v_add_co_u32_e64 v9, s[10:11], 1, v8
	v_cmp_neq_f32_e32 vcc, 0, v11
	v_addc_co_u32_e64 v11, s[10:11], 0, v10, s[10:11]
	v_cndmask_b32_e32 v13, v10, v11, vcc
	v_cndmask_b32_e32 v12, v8, v9, vcc
	v_mov_b32_e32 v8, v0
	v_mov_b32_e32 v9, v1
	;; [unrolled: 1-line block ×4, first 2 shown]
	s_mov_b64 s[10:11], 0
.LBB28_20:                              ;   in Loop: Header=BB28_4 Depth=1
	s_andn2_b64 vcc, exec, s[10:11]
	s_cbranch_vccnz .LBB28_22
; %bb.21:                               ;   in Loop: Header=BB28_4 Depth=1
	v_mov_b32_e32 v9, s17
	v_add_co_u32_e32 v8, vcc, s16, v25
	v_addc_co_u32_e32 v9, vcc, v9, v38, vcc
	global_load_dword v10, v[8:9], off offset:512
	v_mov_b32_e32 v9, s17
	v_add_co_u32_e32 v8, vcc, s16, v24
	v_addc_co_u32_e32 v9, vcc, v9, v21, vcc
	global_load_dword v11, v[8:9], off offset:512
	;; [unrolled: 4-line block ×4, first 2 shown]
	v_add_co_u32_e32 v9, vcc, 1, v4
	v_addc_co_u32_e32 v13, vcc, 0, v5, vcc
	s_waitcnt vmcnt(3)
	v_cmp_neq_f32_e32 vcc, 0, v10
	v_cndmask_b32_e32 v4, v4, v9, vcc
	v_cndmask_b32_e32 v5, v5, v13, vcc
	v_add_co_u32_e32 v9, vcc, 1, v4
	v_addc_co_u32_e32 v10, vcc, 0, v5, vcc
	s_waitcnt vmcnt(2)
	v_cmp_neq_f32_e32 vcc, 0, v11
	v_cndmask_b32_e32 v4, v4, v9, vcc
	v_cndmask_b32_e32 v5, v5, v10, vcc
	;; [unrolled: 6-line block ×4, first 2 shown]
	v_mov_b32_e32 v15, v7
	v_mov_b32_e32 v14, v6
	;; [unrolled: 1-line block ×8, first 2 shown]
.LBB28_22:                              ;   in Loop: Header=BB28_4 Depth=1
	v_mov_b32_e32 v0, v8
	v_mov_b32_e32 v1, v9
	;; [unrolled: 1-line block ×8, first 2 shown]
	s_or_b64 exec, exec, s[36:37]
	s_and_saveexec_b64 s[10:11], s[2:3]
	s_cbranch_execz .LBB28_3
.LBB28_23:                              ;   in Loop: Header=BB28_4 Depth=1
	s_and_b64 vcc, exec, s[8:9]
	s_mov_b64 s[8:9], -1
                                        ; implicit-def: $vgpr8_vgpr9_vgpr10_vgpr11_vgpr12_vgpr13_vgpr14_vgpr15
	s_cbranch_vccnz .LBB28_25
; %bb.24:                               ;   in Loop: Header=BB28_4 Depth=1
	v_add_co_u32_e32 v8, vcc, s16, v34
	v_mov_b32_e32 v9, s17
	v_addc_co_u32_e32 v9, vcc, v9, v35, vcc
	global_load_dwordx4 v[8:11], v[8:9], off
	s_waitcnt vmcnt(0)
	v_cmp_neq_f32_e32 vcc, 0, v8
	v_add_co_u32_e64 v8, s[8:9], 1, v6
	v_addc_co_u32_e64 v12, s[8:9], 0, v7, s[8:9]
	v_cndmask_b32_e32 v8, v6, v8, vcc
	v_cndmask_b32_e32 v12, v7, v12, vcc
	v_cmp_neq_f32_e32 vcc, 0, v9
	v_add_co_u32_e64 v9, s[8:9], 1, v8
	v_addc_co_u32_e64 v13, s[8:9], 0, v12, s[8:9]
	v_cndmask_b32_e32 v8, v8, v9, vcc
	v_cndmask_b32_e32 v12, v12, v13, vcc
	v_cmp_neq_f32_e32 vcc, 0, v10
	v_add_co_u32_e64 v9, s[8:9], 1, v8
	v_addc_co_u32_e64 v10, s[8:9], 0, v12, s[8:9]
	v_cndmask_b32_e32 v8, v8, v9, vcc
	v_cndmask_b32_e32 v10, v12, v10, vcc
	v_add_co_u32_e64 v9, s[8:9], 1, v8
	v_cmp_neq_f32_e32 vcc, 0, v11
	v_addc_co_u32_e64 v11, s[8:9], 0, v10, s[8:9]
	v_cndmask_b32_e32 v15, v10, v11, vcc
	v_cndmask_b32_e32 v14, v8, v9, vcc
	v_mov_b32_e32 v8, v0
	v_mov_b32_e32 v9, v1
	;; [unrolled: 1-line block ×6, first 2 shown]
	s_mov_b64 s[8:9], 0
.LBB28_25:                              ;   in Loop: Header=BB28_4 Depth=1
	s_andn2_b64 vcc, exec, s[8:9]
	s_cbranch_vccnz .LBB28_2
; %bb.26:                               ;   in Loop: Header=BB28_4 Depth=1
	v_mov_b32_e32 v9, s17
	v_add_co_u32_e32 v8, vcc, s16, v25
	v_addc_co_u32_e32 v9, vcc, v9, v38, vcc
	global_load_dword v10, v[8:9], off offset:768
	v_mov_b32_e32 v9, s17
	v_add_co_u32_e32 v8, vcc, s16, v24
	v_addc_co_u32_e32 v9, vcc, v9, v21, vcc
	global_load_dword v11, v[8:9], off offset:768
	;; [unrolled: 4-line block ×4, first 2 shown]
	v_add_co_u32_e32 v9, vcc, 1, v6
	v_addc_co_u32_e32 v13, vcc, 0, v7, vcc
	s_waitcnt vmcnt(3)
	v_cmp_neq_f32_e32 vcc, 0, v10
	v_cndmask_b32_e32 v6, v6, v9, vcc
	v_cndmask_b32_e32 v7, v7, v13, vcc
	v_add_co_u32_e32 v9, vcc, 1, v6
	v_addc_co_u32_e32 v10, vcc, 0, v7, vcc
	s_waitcnt vmcnt(2)
	v_cmp_neq_f32_e32 vcc, 0, v11
	v_cndmask_b32_e32 v6, v6, v9, vcc
	v_cndmask_b32_e32 v7, v7, v10, vcc
	;; [unrolled: 6-line block ×4, first 2 shown]
	v_mov_b32_e32 v15, v7
	v_mov_b32_e32 v14, v6
	;; [unrolled: 1-line block ×8, first 2 shown]
	s_branch .LBB28_2
.LBB28_27:
	s_or_b64 exec, exec, s[34:35]
.LBB28_28:
	s_or_b64 exec, exec, s[26:27]
	v_cmp_lt_i64_e64 s[0:1], s[22:23], 1
	s_and_b64 vcc, exec, s[0:1]
	s_cbranch_vccnz .LBB28_134
; %bb.29:
	v_lshlrev_b64 v[8:9], 2, v[16:17]
	v_mov_b32_e32 v10, s17
	v_add_co_u32_e32 v30, vcc, s16, v8
	v_addc_co_u32_e32 v31, vcc, v10, v9, vcc
	s_cmp_lg_u32 s38, 1
	v_cmp_gt_i64_e32 vcc, s[12:13], v[18:19]
	v_lshlrev_b64 v[22:23], 2, v[18:19]
	s_cselect_b64 s[2:3], -1, 0
	s_and_saveexec_b64 s[4:5], vcc
	s_cbranch_execz .LBB28_55
; %bb.30:
	v_mad_u64_u32 v[8:9], s[0:1], v18, s18, 0
	v_cmp_gt_i64_e32 vcc, s[14:15], v[16:17]
	v_mad_u64_u32 v[9:10], s[0:1], v18, s19, v[9:10]
	v_mov_b32_e32 v10, s17
	v_lshlrev_b64 v[8:9], 2, v[8:9]
	v_add_co_u32_e64 v24, s[0:1], v30, v8
	v_addc_co_u32_e64 v25, s[0:1], v31, v9, s[0:1]
	v_add_co_u32_e64 v21, s[0:1], s16, v22
	v_addc_co_u32_e64 v32, s[0:1], v10, v23, s[0:1]
	s_and_saveexec_b64 s[0:1], vcc
	s_cbranch_execz .LBB28_36
; %bb.31:
	s_and_b64 vcc, exec, s[2:3]
	s_cbranch_vccz .LBB28_33
; %bb.32:
	global_load_dword v26, v[24:25], off
	v_mov_b32_e32 v15, v7
	v_mov_b32_e32 v8, v0
	;; [unrolled: 1-line block ×8, first 2 shown]
	s_waitcnt vmcnt(0)
	v_cmp_neq_f32_e32 vcc, 0, v26
	v_cndmask_b32_e64 v8, 0, 1, vcc
	v_add_co_u32_e32 v8, vcc, v0, v8
	v_addc_co_u32_e32 v9, vcc, 0, v1, vcc
	s_cbranch_execz .LBB28_34
	s_branch .LBB28_35
.LBB28_33:
                                        ; implicit-def: $vgpr8_vgpr9_vgpr10_vgpr11_vgpr12_vgpr13_vgpr14_vgpr15
.LBB28_34:
	v_mul_lo_u32 v10, v17, s18
	v_mul_lo_u32 v11, v16, s19
	v_mad_u64_u32 v[8:9], s[6:7], v16, s18, 0
	v_add3_u32 v9, v9, v11, v10
	v_lshlrev_b64 v[8:9], 2, v[8:9]
	v_add_co_u32_e32 v8, vcc, v21, v8
	v_addc_co_u32_e32 v9, vcc, v32, v9, vcc
	global_load_dword v8, v[8:9], off
	s_waitcnt vmcnt(0)
	v_cmp_neq_f32_e32 vcc, 0, v8
	v_cndmask_b32_e64 v8, 0, 1, vcc
	v_add_co_u32_e32 v0, vcc, v0, v8
	v_addc_co_u32_e32 v1, vcc, 0, v1, vcc
	v_mov_b32_e32 v15, v7
	v_mov_b32_e32 v14, v6
	;; [unrolled: 1-line block ×8, first 2 shown]
.LBB28_35:
	v_mov_b32_e32 v0, v8
	v_mov_b32_e32 v1, v9
	;; [unrolled: 1-line block ×8, first 2 shown]
.LBB28_36:
	s_or_b64 exec, exec, s[0:1]
	v_or_b32_e32 v26, 1, v16
	v_mov_b32_e32 v27, v17
	v_cmp_gt_i64_e32 vcc, s[14:15], v[26:27]
	s_and_saveexec_b64 s[0:1], vcc
	s_cbranch_execz .LBB28_42
; %bb.37:
	s_andn2_b64 vcc, exec, s[2:3]
	s_cbranch_vccnz .LBB28_39
; %bb.38:
	global_load_dword v33, v[24:25], off offset:4
	v_mov_b32_e32 v15, v7
	v_mov_b32_e32 v8, v0
	v_mov_b32_e32 v9, v1
	v_mov_b32_e32 v14, v6
	v_mov_b32_e32 v13, v5
	v_mov_b32_e32 v12, v4
	v_mov_b32_e32 v11, v3
	v_mov_b32_e32 v10, v2
	s_waitcnt vmcnt(0)
	v_cmp_neq_f32_e32 vcc, 0, v33
	v_cndmask_b32_e64 v8, 0, 1, vcc
	v_add_co_u32_e32 v8, vcc, v0, v8
	v_addc_co_u32_e32 v9, vcc, 0, v1, vcc
	s_cbranch_execz .LBB28_40
	s_branch .LBB28_41
.LBB28_39:
                                        ; implicit-def: $vgpr8_vgpr9_vgpr10_vgpr11_vgpr12_vgpr13_vgpr14_vgpr15
.LBB28_40:
	v_mul_lo_u32 v10, v27, s18
	v_mul_lo_u32 v11, v26, s19
	v_mad_u64_u32 v[8:9], s[6:7], v26, s18, 0
	v_add3_u32 v9, v9, v11, v10
	v_lshlrev_b64 v[8:9], 2, v[8:9]
	v_add_co_u32_e32 v8, vcc, v21, v8
	v_addc_co_u32_e32 v9, vcc, v32, v9, vcc
	global_load_dword v8, v[8:9], off
	s_waitcnt vmcnt(0)
	v_cmp_neq_f32_e32 vcc, 0, v8
	v_cndmask_b32_e64 v8, 0, 1, vcc
	v_add_co_u32_e32 v0, vcc, v0, v8
	v_addc_co_u32_e32 v1, vcc, 0, v1, vcc
	v_mov_b32_e32 v15, v7
	v_mov_b32_e32 v14, v6
	v_mov_b32_e32 v13, v5
	v_mov_b32_e32 v12, v4
	v_mov_b32_e32 v11, v3
	v_mov_b32_e32 v10, v2
	v_mov_b32_e32 v9, v1
	v_mov_b32_e32 v8, v0
.LBB28_41:
	v_mov_b32_e32 v0, v8
	v_mov_b32_e32 v1, v9
	v_mov_b32_e32 v2, v10
	v_mov_b32_e32 v3, v11
	v_mov_b32_e32 v4, v12
	v_mov_b32_e32 v5, v13
	v_mov_b32_e32 v6, v14
	v_mov_b32_e32 v7, v15
.LBB28_42:
	s_or_b64 exec, exec, s[0:1]
	v_or_b32_e32 v26, 2, v16
	v_mov_b32_e32 v27, v17
	v_cmp_gt_i64_e32 vcc, s[14:15], v[26:27]
	s_and_saveexec_b64 s[0:1], vcc
	s_cbranch_execz .LBB28_48
; %bb.43:
	s_andn2_b64 vcc, exec, s[2:3]
	s_cbranch_vccnz .LBB28_45
; %bb.44:
	global_load_dword v33, v[24:25], off offset:8
	v_mov_b32_e32 v15, v7
	v_mov_b32_e32 v8, v0
	v_mov_b32_e32 v9, v1
	v_mov_b32_e32 v14, v6
	v_mov_b32_e32 v13, v5
	v_mov_b32_e32 v12, v4
	v_mov_b32_e32 v11, v3
	v_mov_b32_e32 v10, v2
	s_waitcnt vmcnt(0)
	v_cmp_neq_f32_e32 vcc, 0, v33
	v_cndmask_b32_e64 v8, 0, 1, vcc
	v_add_co_u32_e32 v8, vcc, v0, v8
	v_addc_co_u32_e32 v9, vcc, 0, v1, vcc
	s_cbranch_execz .LBB28_46
	s_branch .LBB28_47
.LBB28_45:
                                        ; implicit-def: $vgpr8_vgpr9_vgpr10_vgpr11_vgpr12_vgpr13_vgpr14_vgpr15
.LBB28_46:
	v_mul_lo_u32 v10, v27, s18
	v_mul_lo_u32 v11, v26, s19
	v_mad_u64_u32 v[8:9], s[6:7], v26, s18, 0
	v_add3_u32 v9, v9, v11, v10
	v_lshlrev_b64 v[8:9], 2, v[8:9]
	v_add_co_u32_e32 v8, vcc, v21, v8
	v_addc_co_u32_e32 v9, vcc, v32, v9, vcc
	global_load_dword v8, v[8:9], off
	s_waitcnt vmcnt(0)
	v_cmp_neq_f32_e32 vcc, 0, v8
	v_cndmask_b32_e64 v8, 0, 1, vcc
	v_add_co_u32_e32 v0, vcc, v0, v8
	v_addc_co_u32_e32 v1, vcc, 0, v1, vcc
	v_mov_b32_e32 v15, v7
	v_mov_b32_e32 v14, v6
	v_mov_b32_e32 v13, v5
	v_mov_b32_e32 v12, v4
	v_mov_b32_e32 v11, v3
	v_mov_b32_e32 v10, v2
	v_mov_b32_e32 v9, v1
	v_mov_b32_e32 v8, v0
.LBB28_47:
	v_mov_b32_e32 v0, v8
	v_mov_b32_e32 v1, v9
	v_mov_b32_e32 v2, v10
	v_mov_b32_e32 v3, v11
	v_mov_b32_e32 v4, v12
	v_mov_b32_e32 v5, v13
	v_mov_b32_e32 v6, v14
	v_mov_b32_e32 v7, v15
.LBB28_48:
	s_or_b64 exec, exec, s[0:1]
	v_or_b32_e32 v26, 3, v16
	v_mov_b32_e32 v27, v17
	v_cmp_gt_i64_e32 vcc, s[14:15], v[26:27]
	s_and_saveexec_b64 s[0:1], vcc
	s_cbranch_execz .LBB28_54
; %bb.49:
	s_andn2_b64 vcc, exec, s[2:3]
	s_cbranch_vccnz .LBB28_51
; %bb.50:
	global_load_dword v24, v[24:25], off offset:12
	v_mov_b32_e32 v15, v7
	v_mov_b32_e32 v8, v0
	v_mov_b32_e32 v9, v1
	v_mov_b32_e32 v14, v6
	v_mov_b32_e32 v13, v5
	v_mov_b32_e32 v12, v4
	v_mov_b32_e32 v11, v3
	v_mov_b32_e32 v10, v2
	s_waitcnt vmcnt(0)
	v_cmp_neq_f32_e32 vcc, 0, v24
	v_cndmask_b32_e64 v8, 0, 1, vcc
	v_add_co_u32_e32 v8, vcc, v0, v8
	v_addc_co_u32_e32 v9, vcc, 0, v1, vcc
	s_cbranch_execz .LBB28_52
	s_branch .LBB28_53
.LBB28_51:
                                        ; implicit-def: $vgpr8_vgpr9_vgpr10_vgpr11_vgpr12_vgpr13_vgpr14_vgpr15
.LBB28_52:
	v_mul_lo_u32 v10, v27, s18
	v_mul_lo_u32 v11, v26, s19
	v_mad_u64_u32 v[8:9], s[6:7], v26, s18, 0
	v_add3_u32 v9, v9, v11, v10
	v_lshlrev_b64 v[8:9], 2, v[8:9]
	v_add_co_u32_e32 v8, vcc, v21, v8
	v_addc_co_u32_e32 v9, vcc, v32, v9, vcc
	global_load_dword v8, v[8:9], off
	s_waitcnt vmcnt(0)
	v_cmp_neq_f32_e32 vcc, 0, v8
	v_cndmask_b32_e64 v8, 0, 1, vcc
	v_add_co_u32_e32 v0, vcc, v0, v8
	v_addc_co_u32_e32 v1, vcc, 0, v1, vcc
	v_mov_b32_e32 v15, v7
	v_mov_b32_e32 v14, v6
	v_mov_b32_e32 v13, v5
	v_mov_b32_e32 v12, v4
	v_mov_b32_e32 v11, v3
	v_mov_b32_e32 v10, v2
	v_mov_b32_e32 v9, v1
	v_mov_b32_e32 v8, v0
.LBB28_53:
	v_mov_b32_e32 v0, v8
	v_mov_b32_e32 v1, v9
	v_mov_b32_e32 v2, v10
	v_mov_b32_e32 v3, v11
	v_mov_b32_e32 v4, v12
	v_mov_b32_e32 v5, v13
	v_mov_b32_e32 v6, v14
	v_mov_b32_e32 v7, v15
.LBB28_54:
	s_or_b64 exec, exec, s[0:1]
.LBB28_55:
	s_or_b64 exec, exec, s[4:5]
	v_mov_b32_e32 v21, v19
	v_cmp_gt_i64_e32 vcc, s[12:13], v[20:21]
	s_and_saveexec_b64 s[4:5], vcc
	s_cbranch_execz .LBB28_81
; %bb.56:
	v_mad_u64_u32 v[8:9], s[0:1], v20, s18, 0
	v_cmp_gt_i64_e32 vcc, s[14:15], v[16:17]
	v_mad_u64_u32 v[9:10], s[0:1], v20, s19, v[9:10]
	v_mov_b32_e32 v10, s17
	v_lshlrev_b64 v[8:9], 2, v[8:9]
	v_add_co_u32_e64 v20, s[0:1], v30, v8
	v_addc_co_u32_e64 v21, s[0:1], v31, v9, s[0:1]
	v_add_co_u32_e64 v26, s[0:1], s16, v22
	v_addc_co_u32_e64 v27, s[0:1], v10, v23, s[0:1]
	s_and_saveexec_b64 s[0:1], vcc
	s_cbranch_execz .LBB28_62
; %bb.57:
	s_andn2_b64 vcc, exec, s[2:3]
	s_cbranch_vccnz .LBB28_59
; %bb.58:
	global_load_dword v24, v[20:21], off
	v_mov_b32_e32 v15, v7
	v_mov_b32_e32 v10, v2
	;; [unrolled: 1-line block ×8, first 2 shown]
	s_waitcnt vmcnt(0)
	v_cmp_neq_f32_e32 vcc, 0, v24
	v_cndmask_b32_e64 v10, 0, 1, vcc
	v_add_co_u32_e32 v10, vcc, v2, v10
	v_addc_co_u32_e32 v11, vcc, 0, v3, vcc
	s_cbranch_execz .LBB28_60
	s_branch .LBB28_61
.LBB28_59:
                                        ; implicit-def: $vgpr8_vgpr9_vgpr10_vgpr11_vgpr12_vgpr13_vgpr14_vgpr15
.LBB28_60:
	v_mul_lo_u32 v10, v17, s18
	v_mul_lo_u32 v11, v16, s19
	v_mad_u64_u32 v[8:9], s[6:7], v16, s18, 0
	v_add3_u32 v9, v9, v11, v10
	v_lshlrev_b64 v[8:9], 2, v[8:9]
	v_add_co_u32_e32 v8, vcc, v26, v8
	v_addc_co_u32_e32 v9, vcc, v27, v9, vcc
	global_load_dword v8, v[8:9], off offset:256
	s_waitcnt vmcnt(0)
	v_cmp_neq_f32_e32 vcc, 0, v8
	v_cndmask_b32_e64 v8, 0, 1, vcc
	v_add_co_u32_e32 v2, vcc, v2, v8
	v_addc_co_u32_e32 v3, vcc, 0, v3, vcc
	v_mov_b32_e32 v15, v7
	v_mov_b32_e32 v14, v6
	;; [unrolled: 1-line block ×8, first 2 shown]
.LBB28_61:
	v_mov_b32_e32 v0, v8
	v_mov_b32_e32 v1, v9
	;; [unrolled: 1-line block ×8, first 2 shown]
.LBB28_62:
	s_or_b64 exec, exec, s[0:1]
	v_or_b32_e32 v24, 1, v16
	v_mov_b32_e32 v25, v17
	v_cmp_gt_i64_e32 vcc, s[14:15], v[24:25]
	s_and_saveexec_b64 s[0:1], vcc
	s_cbranch_execz .LBB28_68
; %bb.63:
	s_andn2_b64 vcc, exec, s[2:3]
	s_cbranch_vccnz .LBB28_65
; %bb.64:
	global_load_dword v32, v[20:21], off offset:4
	v_mov_b32_e32 v15, v7
	v_mov_b32_e32 v10, v2
	v_mov_b32_e32 v11, v3
	v_mov_b32_e32 v14, v6
	v_mov_b32_e32 v13, v5
	v_mov_b32_e32 v12, v4
	v_mov_b32_e32 v9, v1
	v_mov_b32_e32 v8, v0
	s_waitcnt vmcnt(0)
	v_cmp_neq_f32_e32 vcc, 0, v32
	v_cndmask_b32_e64 v10, 0, 1, vcc
	v_add_co_u32_e32 v10, vcc, v2, v10
	v_addc_co_u32_e32 v11, vcc, 0, v3, vcc
	s_cbranch_execz .LBB28_66
	s_branch .LBB28_67
.LBB28_65:
                                        ; implicit-def: $vgpr8_vgpr9_vgpr10_vgpr11_vgpr12_vgpr13_vgpr14_vgpr15
.LBB28_66:
	v_mul_lo_u32 v10, v25, s18
	v_mul_lo_u32 v11, v24, s19
	v_mad_u64_u32 v[8:9], s[6:7], v24, s18, 0
	v_add3_u32 v9, v9, v11, v10
	v_lshlrev_b64 v[8:9], 2, v[8:9]
	v_add_co_u32_e32 v8, vcc, v26, v8
	v_addc_co_u32_e32 v9, vcc, v27, v9, vcc
	global_load_dword v8, v[8:9], off offset:256
	s_waitcnt vmcnt(0)
	v_cmp_neq_f32_e32 vcc, 0, v8
	v_cndmask_b32_e64 v8, 0, 1, vcc
	v_add_co_u32_e32 v2, vcc, v2, v8
	v_addc_co_u32_e32 v3, vcc, 0, v3, vcc
	v_mov_b32_e32 v15, v7
	v_mov_b32_e32 v14, v6
	v_mov_b32_e32 v13, v5
	v_mov_b32_e32 v12, v4
	v_mov_b32_e32 v11, v3
	v_mov_b32_e32 v10, v2
	v_mov_b32_e32 v9, v1
	v_mov_b32_e32 v8, v0
.LBB28_67:
	v_mov_b32_e32 v0, v8
	v_mov_b32_e32 v1, v9
	v_mov_b32_e32 v2, v10
	v_mov_b32_e32 v3, v11
	v_mov_b32_e32 v4, v12
	v_mov_b32_e32 v5, v13
	v_mov_b32_e32 v6, v14
	v_mov_b32_e32 v7, v15
.LBB28_68:
	s_or_b64 exec, exec, s[0:1]
	v_or_b32_e32 v24, 2, v16
	v_mov_b32_e32 v25, v17
	v_cmp_gt_i64_e32 vcc, s[14:15], v[24:25]
	s_and_saveexec_b64 s[0:1], vcc
	s_cbranch_execz .LBB28_74
; %bb.69:
	s_andn2_b64 vcc, exec, s[2:3]
	s_cbranch_vccnz .LBB28_71
; %bb.70:
	global_load_dword v32, v[20:21], off offset:8
	v_mov_b32_e32 v15, v7
	v_mov_b32_e32 v10, v2
	v_mov_b32_e32 v11, v3
	v_mov_b32_e32 v14, v6
	v_mov_b32_e32 v13, v5
	v_mov_b32_e32 v12, v4
	v_mov_b32_e32 v9, v1
	v_mov_b32_e32 v8, v0
	s_waitcnt vmcnt(0)
	v_cmp_neq_f32_e32 vcc, 0, v32
	v_cndmask_b32_e64 v10, 0, 1, vcc
	v_add_co_u32_e32 v10, vcc, v2, v10
	v_addc_co_u32_e32 v11, vcc, 0, v3, vcc
	s_cbranch_execz .LBB28_72
	s_branch .LBB28_73
.LBB28_71:
                                        ; implicit-def: $vgpr8_vgpr9_vgpr10_vgpr11_vgpr12_vgpr13_vgpr14_vgpr15
.LBB28_72:
	v_mul_lo_u32 v10, v25, s18
	v_mul_lo_u32 v11, v24, s19
	v_mad_u64_u32 v[8:9], s[6:7], v24, s18, 0
	v_add3_u32 v9, v9, v11, v10
	v_lshlrev_b64 v[8:9], 2, v[8:9]
	v_add_co_u32_e32 v8, vcc, v26, v8
	v_addc_co_u32_e32 v9, vcc, v27, v9, vcc
	global_load_dword v8, v[8:9], off offset:256
	s_waitcnt vmcnt(0)
	v_cmp_neq_f32_e32 vcc, 0, v8
	v_cndmask_b32_e64 v8, 0, 1, vcc
	v_add_co_u32_e32 v2, vcc, v2, v8
	v_addc_co_u32_e32 v3, vcc, 0, v3, vcc
	v_mov_b32_e32 v15, v7
	v_mov_b32_e32 v14, v6
	v_mov_b32_e32 v13, v5
	v_mov_b32_e32 v12, v4
	v_mov_b32_e32 v11, v3
	v_mov_b32_e32 v10, v2
	v_mov_b32_e32 v9, v1
	v_mov_b32_e32 v8, v0
.LBB28_73:
	v_mov_b32_e32 v0, v8
	v_mov_b32_e32 v1, v9
	v_mov_b32_e32 v2, v10
	v_mov_b32_e32 v3, v11
	v_mov_b32_e32 v4, v12
	v_mov_b32_e32 v5, v13
	v_mov_b32_e32 v6, v14
	v_mov_b32_e32 v7, v15
.LBB28_74:
	;; [unrolled: 60-line block ×3, first 2 shown]
	s_or_b64 exec, exec, s[0:1]
.LBB28_81:
	s_or_b64 exec, exec, s[4:5]
	v_or_b32_e32 v8, 0x80, v18
	v_mov_b32_e32 v9, v19
	v_cmp_gt_i64_e32 vcc, s[12:13], v[8:9]
	s_and_saveexec_b64 s[4:5], vcc
	s_cbranch_execz .LBB28_107
; %bb.82:
	v_mad_u64_u32 v[9:10], s[0:1], v8, s18, 0
	v_cmp_gt_i64_e32 vcc, s[14:15], v[16:17]
	v_mad_u64_u32 v[10:11], s[0:1], v8, s19, v[10:11]
	v_mov_b32_e32 v11, s17
	v_lshlrev_b64 v[8:9], 2, v[9:10]
	v_add_co_u32_e64 v20, s[0:1], v30, v8
	v_addc_co_u32_e64 v21, s[0:1], v31, v9, s[0:1]
	v_add_co_u32_e64 v26, s[0:1], s16, v22
	v_addc_co_u32_e64 v27, s[0:1], v11, v23, s[0:1]
	s_and_saveexec_b64 s[0:1], vcc
	s_cbranch_execz .LBB28_88
; %bb.83:
	s_andn2_b64 vcc, exec, s[2:3]
	s_cbranch_vccnz .LBB28_85
; %bb.84:
	global_load_dword v24, v[20:21], off
	v_mov_b32_e32 v15, v7
	v_mov_b32_e32 v12, v4
	;; [unrolled: 1-line block ×8, first 2 shown]
	s_waitcnt vmcnt(0)
	v_cmp_neq_f32_e32 vcc, 0, v24
	v_cndmask_b32_e64 v12, 0, 1, vcc
	v_add_co_u32_e32 v12, vcc, v4, v12
	v_addc_co_u32_e32 v13, vcc, 0, v5, vcc
	s_cbranch_execz .LBB28_86
	s_branch .LBB28_87
.LBB28_85:
                                        ; implicit-def: $vgpr8_vgpr9_vgpr10_vgpr11_vgpr12_vgpr13_vgpr14_vgpr15
.LBB28_86:
	v_mul_lo_u32 v10, v17, s18
	v_mul_lo_u32 v11, v16, s19
	v_mad_u64_u32 v[8:9], s[6:7], v16, s18, 0
	v_add3_u32 v9, v9, v11, v10
	v_lshlrev_b64 v[8:9], 2, v[8:9]
	v_add_co_u32_e32 v8, vcc, v26, v8
	v_addc_co_u32_e32 v9, vcc, v27, v9, vcc
	global_load_dword v8, v[8:9], off offset:512
	s_waitcnt vmcnt(0)
	v_cmp_neq_f32_e32 vcc, 0, v8
	v_cndmask_b32_e64 v8, 0, 1, vcc
	v_add_co_u32_e32 v4, vcc, v4, v8
	v_addc_co_u32_e32 v5, vcc, 0, v5, vcc
	v_mov_b32_e32 v15, v7
	v_mov_b32_e32 v14, v6
	;; [unrolled: 1-line block ×8, first 2 shown]
.LBB28_87:
	v_mov_b32_e32 v0, v8
	v_mov_b32_e32 v1, v9
	;; [unrolled: 1-line block ×8, first 2 shown]
.LBB28_88:
	s_or_b64 exec, exec, s[0:1]
	v_or_b32_e32 v24, 1, v16
	v_mov_b32_e32 v25, v17
	v_cmp_gt_i64_e32 vcc, s[14:15], v[24:25]
	s_and_saveexec_b64 s[0:1], vcc
	s_cbranch_execz .LBB28_94
; %bb.89:
	s_andn2_b64 vcc, exec, s[2:3]
	s_cbranch_vccnz .LBB28_91
; %bb.90:
	global_load_dword v32, v[20:21], off offset:4
	v_mov_b32_e32 v15, v7
	v_mov_b32_e32 v12, v4
	v_mov_b32_e32 v13, v5
	v_mov_b32_e32 v14, v6
	v_mov_b32_e32 v11, v3
	v_mov_b32_e32 v10, v2
	v_mov_b32_e32 v9, v1
	v_mov_b32_e32 v8, v0
	s_waitcnt vmcnt(0)
	v_cmp_neq_f32_e32 vcc, 0, v32
	v_cndmask_b32_e64 v12, 0, 1, vcc
	v_add_co_u32_e32 v12, vcc, v4, v12
	v_addc_co_u32_e32 v13, vcc, 0, v5, vcc
	s_cbranch_execz .LBB28_92
	s_branch .LBB28_93
.LBB28_91:
                                        ; implicit-def: $vgpr8_vgpr9_vgpr10_vgpr11_vgpr12_vgpr13_vgpr14_vgpr15
.LBB28_92:
	v_mul_lo_u32 v10, v25, s18
	v_mul_lo_u32 v11, v24, s19
	v_mad_u64_u32 v[8:9], s[6:7], v24, s18, 0
	v_add3_u32 v9, v9, v11, v10
	v_lshlrev_b64 v[8:9], 2, v[8:9]
	v_add_co_u32_e32 v8, vcc, v26, v8
	v_addc_co_u32_e32 v9, vcc, v27, v9, vcc
	global_load_dword v8, v[8:9], off offset:512
	s_waitcnt vmcnt(0)
	v_cmp_neq_f32_e32 vcc, 0, v8
	v_cndmask_b32_e64 v8, 0, 1, vcc
	v_add_co_u32_e32 v4, vcc, v4, v8
	v_addc_co_u32_e32 v5, vcc, 0, v5, vcc
	v_mov_b32_e32 v15, v7
	v_mov_b32_e32 v14, v6
	v_mov_b32_e32 v13, v5
	v_mov_b32_e32 v12, v4
	v_mov_b32_e32 v11, v3
	v_mov_b32_e32 v10, v2
	v_mov_b32_e32 v9, v1
	v_mov_b32_e32 v8, v0
.LBB28_93:
	v_mov_b32_e32 v0, v8
	v_mov_b32_e32 v1, v9
	v_mov_b32_e32 v2, v10
	v_mov_b32_e32 v3, v11
	v_mov_b32_e32 v4, v12
	v_mov_b32_e32 v5, v13
	v_mov_b32_e32 v6, v14
	v_mov_b32_e32 v7, v15
.LBB28_94:
	s_or_b64 exec, exec, s[0:1]
	v_or_b32_e32 v24, 2, v16
	v_mov_b32_e32 v25, v17
	v_cmp_gt_i64_e32 vcc, s[14:15], v[24:25]
	s_and_saveexec_b64 s[0:1], vcc
	s_cbranch_execz .LBB28_100
; %bb.95:
	s_andn2_b64 vcc, exec, s[2:3]
	s_cbranch_vccnz .LBB28_97
; %bb.96:
	global_load_dword v32, v[20:21], off offset:8
	v_mov_b32_e32 v15, v7
	v_mov_b32_e32 v12, v4
	v_mov_b32_e32 v13, v5
	v_mov_b32_e32 v14, v6
	v_mov_b32_e32 v11, v3
	v_mov_b32_e32 v10, v2
	v_mov_b32_e32 v9, v1
	v_mov_b32_e32 v8, v0
	s_waitcnt vmcnt(0)
	v_cmp_neq_f32_e32 vcc, 0, v32
	v_cndmask_b32_e64 v12, 0, 1, vcc
	v_add_co_u32_e32 v12, vcc, v4, v12
	v_addc_co_u32_e32 v13, vcc, 0, v5, vcc
	s_cbranch_execz .LBB28_98
	s_branch .LBB28_99
.LBB28_97:
                                        ; implicit-def: $vgpr8_vgpr9_vgpr10_vgpr11_vgpr12_vgpr13_vgpr14_vgpr15
.LBB28_98:
	v_mul_lo_u32 v10, v25, s18
	v_mul_lo_u32 v11, v24, s19
	v_mad_u64_u32 v[8:9], s[6:7], v24, s18, 0
	v_add3_u32 v9, v9, v11, v10
	v_lshlrev_b64 v[8:9], 2, v[8:9]
	v_add_co_u32_e32 v8, vcc, v26, v8
	v_addc_co_u32_e32 v9, vcc, v27, v9, vcc
	global_load_dword v8, v[8:9], off offset:512
	s_waitcnt vmcnt(0)
	v_cmp_neq_f32_e32 vcc, 0, v8
	v_cndmask_b32_e64 v8, 0, 1, vcc
	v_add_co_u32_e32 v4, vcc, v4, v8
	v_addc_co_u32_e32 v5, vcc, 0, v5, vcc
	v_mov_b32_e32 v15, v7
	v_mov_b32_e32 v14, v6
	v_mov_b32_e32 v13, v5
	v_mov_b32_e32 v12, v4
	v_mov_b32_e32 v11, v3
	v_mov_b32_e32 v10, v2
	v_mov_b32_e32 v9, v1
	v_mov_b32_e32 v8, v0
.LBB28_99:
	v_mov_b32_e32 v0, v8
	v_mov_b32_e32 v1, v9
	v_mov_b32_e32 v2, v10
	v_mov_b32_e32 v3, v11
	v_mov_b32_e32 v4, v12
	v_mov_b32_e32 v5, v13
	v_mov_b32_e32 v6, v14
	v_mov_b32_e32 v7, v15
.LBB28_100:
	;; [unrolled: 60-line block ×3, first 2 shown]
	s_or_b64 exec, exec, s[0:1]
.LBB28_107:
	s_or_b64 exec, exec, s[4:5]
	v_or_b32_e32 v18, 0xc0, v18
	v_cmp_gt_i64_e32 vcc, s[12:13], v[18:19]
	s_and_saveexec_b64 s[4:5], vcc
	s_cbranch_execz .LBB28_133
; %bb.108:
	v_mad_u64_u32 v[8:9], s[0:1], v18, s18, 0
	v_mad_u64_u32 v[9:10], s[0:1], v18, s19, v[9:10]
	v_mov_b32_e32 v10, s17
	v_lshlrev_b64 v[8:9], 2, v[8:9]
	v_add_co_u32_e32 v18, vcc, v30, v8
	v_addc_co_u32_e32 v19, vcc, v31, v9, vcc
	v_add_co_u32_e32 v22, vcc, s16, v22
	v_addc_co_u32_e32 v23, vcc, v10, v23, vcc
	v_cmp_gt_i64_e32 vcc, s[14:15], v[16:17]
	v_cndmask_b32_e64 v8, 0, 1, s[2:3]
	v_cmp_ne_u32_e64 s[0:1], 1, v8
	s_and_saveexec_b64 s[2:3], vcc
	s_cbranch_execz .LBB28_114
; %bb.109:
	s_and_b64 vcc, exec, s[0:1]
	s_cbranch_vccnz .LBB28_111
; %bb.110:
	global_load_dword v20, v[18:19], off
	v_mov_b32_e32 v15, v7
	v_mov_b32_e32 v14, v6
	;; [unrolled: 1-line block ×8, first 2 shown]
	s_waitcnt vmcnt(0)
	v_cmp_neq_f32_e32 vcc, 0, v20
	v_cndmask_b32_e64 v14, 0, 1, vcc
	v_add_co_u32_e32 v14, vcc, v6, v14
	v_addc_co_u32_e32 v15, vcc, 0, v7, vcc
	s_cbranch_execz .LBB28_112
	s_branch .LBB28_113
.LBB28_111:
                                        ; implicit-def: $vgpr8_vgpr9_vgpr10_vgpr11_vgpr12_vgpr13_vgpr14_vgpr15
.LBB28_112:
	v_mul_lo_u32 v10, v17, s18
	v_mul_lo_u32 v11, v16, s19
	v_mad_u64_u32 v[8:9], s[6:7], v16, s18, 0
	v_add3_u32 v9, v9, v11, v10
	v_lshlrev_b64 v[8:9], 2, v[8:9]
	v_add_co_u32_e32 v8, vcc, v22, v8
	v_addc_co_u32_e32 v9, vcc, v23, v9, vcc
	global_load_dword v8, v[8:9], off offset:768
	s_waitcnt vmcnt(0)
	v_cmp_neq_f32_e32 vcc, 0, v8
	v_cndmask_b32_e64 v8, 0, 1, vcc
	v_add_co_u32_e32 v6, vcc, v6, v8
	v_addc_co_u32_e32 v7, vcc, 0, v7, vcc
	v_mov_b32_e32 v15, v7
	v_mov_b32_e32 v14, v6
	;; [unrolled: 1-line block ×8, first 2 shown]
.LBB28_113:
	v_mov_b32_e32 v0, v8
	v_mov_b32_e32 v1, v9
	v_mov_b32_e32 v2, v10
	v_mov_b32_e32 v3, v11
	v_mov_b32_e32 v4, v12
	v_mov_b32_e32 v5, v13
	v_mov_b32_e32 v6, v14
	v_mov_b32_e32 v7, v15
.LBB28_114:
	s_or_b64 exec, exec, s[2:3]
	v_or_b32_e32 v20, 1, v16
	v_mov_b32_e32 v21, v17
	v_cmp_gt_i64_e32 vcc, s[14:15], v[20:21]
	s_and_saveexec_b64 s[2:3], vcc
	s_cbranch_execz .LBB28_120
; %bb.115:
	s_and_b64 vcc, exec, s[0:1]
	s_cbranch_vccnz .LBB28_117
; %bb.116:
	global_load_dword v24, v[18:19], off offset:4
	v_mov_b32_e32 v15, v7
	v_mov_b32_e32 v14, v6
	;; [unrolled: 1-line block ×8, first 2 shown]
	s_waitcnt vmcnt(0)
	v_cmp_neq_f32_e32 vcc, 0, v24
	v_cndmask_b32_e64 v14, 0, 1, vcc
	v_add_co_u32_e32 v14, vcc, v6, v14
	v_addc_co_u32_e32 v15, vcc, 0, v7, vcc
	s_cbranch_execz .LBB28_118
	s_branch .LBB28_119
.LBB28_117:
                                        ; implicit-def: $vgpr8_vgpr9_vgpr10_vgpr11_vgpr12_vgpr13_vgpr14_vgpr15
.LBB28_118:
	v_mul_lo_u32 v10, v21, s18
	v_mul_lo_u32 v11, v20, s19
	v_mad_u64_u32 v[8:9], s[6:7], v20, s18, 0
	v_add3_u32 v9, v9, v11, v10
	v_lshlrev_b64 v[8:9], 2, v[8:9]
	v_add_co_u32_e32 v8, vcc, v22, v8
	v_addc_co_u32_e32 v9, vcc, v23, v9, vcc
	global_load_dword v8, v[8:9], off offset:768
	s_waitcnt vmcnt(0)
	v_cmp_neq_f32_e32 vcc, 0, v8
	v_cndmask_b32_e64 v8, 0, 1, vcc
	v_add_co_u32_e32 v6, vcc, v6, v8
	v_addc_co_u32_e32 v7, vcc, 0, v7, vcc
	v_mov_b32_e32 v15, v7
	v_mov_b32_e32 v14, v6
	;; [unrolled: 1-line block ×8, first 2 shown]
.LBB28_119:
	v_mov_b32_e32 v0, v8
	v_mov_b32_e32 v1, v9
	;; [unrolled: 1-line block ×8, first 2 shown]
.LBB28_120:
	s_or_b64 exec, exec, s[2:3]
	v_or_b32_e32 v20, 2, v16
	v_mov_b32_e32 v21, v17
	v_cmp_gt_i64_e32 vcc, s[14:15], v[20:21]
	s_and_saveexec_b64 s[2:3], vcc
	s_cbranch_execz .LBB28_126
; %bb.121:
	s_and_b64 vcc, exec, s[0:1]
	s_cbranch_vccnz .LBB28_123
; %bb.122:
	global_load_dword v24, v[18:19], off offset:8
	v_mov_b32_e32 v15, v7
	v_mov_b32_e32 v14, v6
	;; [unrolled: 1-line block ×8, first 2 shown]
	s_waitcnt vmcnt(0)
	v_cmp_neq_f32_e32 vcc, 0, v24
	v_cndmask_b32_e64 v14, 0, 1, vcc
	v_add_co_u32_e32 v14, vcc, v6, v14
	v_addc_co_u32_e32 v15, vcc, 0, v7, vcc
	s_cbranch_execz .LBB28_124
	s_branch .LBB28_125
.LBB28_123:
                                        ; implicit-def: $vgpr8_vgpr9_vgpr10_vgpr11_vgpr12_vgpr13_vgpr14_vgpr15
.LBB28_124:
	v_mul_lo_u32 v10, v21, s18
	v_mul_lo_u32 v11, v20, s19
	v_mad_u64_u32 v[8:9], s[6:7], v20, s18, 0
	v_add3_u32 v9, v9, v11, v10
	v_lshlrev_b64 v[8:9], 2, v[8:9]
	v_add_co_u32_e32 v8, vcc, v22, v8
	v_addc_co_u32_e32 v9, vcc, v23, v9, vcc
	global_load_dword v8, v[8:9], off offset:768
	s_waitcnt vmcnt(0)
	v_cmp_neq_f32_e32 vcc, 0, v8
	v_cndmask_b32_e64 v8, 0, 1, vcc
	v_add_co_u32_e32 v6, vcc, v6, v8
	v_addc_co_u32_e32 v7, vcc, 0, v7, vcc
	v_mov_b32_e32 v15, v7
	v_mov_b32_e32 v14, v6
	;; [unrolled: 1-line block ×8, first 2 shown]
.LBB28_125:
	v_mov_b32_e32 v0, v8
	v_mov_b32_e32 v1, v9
	;; [unrolled: 1-line block ×8, first 2 shown]
.LBB28_126:
	s_or_b64 exec, exec, s[2:3]
	v_or_b32_e32 v16, 3, v16
	v_cmp_gt_i64_e32 vcc, s[14:15], v[16:17]
	s_and_saveexec_b64 s[2:3], vcc
	s_cbranch_execz .LBB28_132
; %bb.127:
	s_and_b64 vcc, exec, s[0:1]
	s_cbranch_vccnz .LBB28_129
; %bb.128:
	global_load_dword v18, v[18:19], off offset:12
	v_mov_b32_e32 v15, v7
	v_mov_b32_e32 v14, v6
	;; [unrolled: 1-line block ×8, first 2 shown]
	s_waitcnt vmcnt(0)
	v_cmp_neq_f32_e32 vcc, 0, v18
	v_cndmask_b32_e64 v14, 0, 1, vcc
	v_add_co_u32_e32 v14, vcc, v6, v14
	v_addc_co_u32_e32 v15, vcc, 0, v7, vcc
	s_cbranch_execz .LBB28_130
	s_branch .LBB28_131
.LBB28_129:
                                        ; implicit-def: $vgpr8_vgpr9_vgpr10_vgpr11_vgpr12_vgpr13_vgpr14_vgpr15
.LBB28_130:
	v_mul_lo_u32 v10, v17, s18
	v_mul_lo_u32 v11, v16, s19
	v_mad_u64_u32 v[8:9], s[0:1], v16, s18, 0
	v_add3_u32 v9, v9, v11, v10
	v_lshlrev_b64 v[8:9], 2, v[8:9]
	v_add_co_u32_e32 v8, vcc, v22, v8
	v_addc_co_u32_e32 v9, vcc, v23, v9, vcc
	global_load_dword v8, v[8:9], off offset:768
	s_waitcnt vmcnt(0)
	v_cmp_neq_f32_e32 vcc, 0, v8
	v_cndmask_b32_e64 v8, 0, 1, vcc
	v_add_co_u32_e32 v6, vcc, v6, v8
	v_addc_co_u32_e32 v7, vcc, 0, v7, vcc
	v_mov_b32_e32 v15, v7
	v_mov_b32_e32 v14, v6
	v_mov_b32_e32 v13, v5
	v_mov_b32_e32 v12, v4
	v_mov_b32_e32 v11, v3
	v_mov_b32_e32 v10, v2
	v_mov_b32_e32 v9, v1
	v_mov_b32_e32 v8, v0
.LBB28_131:
	v_mov_b32_e32 v0, v8
	v_mov_b32_e32 v1, v9
	v_mov_b32_e32 v2, v10
	v_mov_b32_e32 v3, v11
	v_mov_b32_e32 v4, v12
	v_mov_b32_e32 v5, v13
	v_mov_b32_e32 v6, v14
	v_mov_b32_e32 v7, v15
.LBB28_132:
	s_or_b64 exec, exec, s[2:3]
.LBB28_133:
	s_or_b64 exec, exec, s[4:5]
.LBB28_134:
	v_lshlrev_b32_e32 v8, 5, v28
	v_lshlrev_b32_e32 v9, 3, v29
	s_movk_i32 s0, 0xf800
	v_and_or_b32 v8, v8, s0, v9
	s_movk_i32 s0, 0x100
	v_cmp_gt_u32_e32 vcc, s0, v28
	ds_write2st64_b64 v8, v[0:1], v[2:3] offset1:1
	ds_write2st64_b64 v8, v[4:5], v[6:7] offset0:2 offset1:3
	s_waitcnt lgkmcnt(0)
	s_barrier
	s_and_saveexec_b64 s[0:1], vcc
	s_cbranch_execz .LBB28_137
; %bb.135:
	v_lshlrev_b32_e32 v10, 3, v28
	ds_read2st64_b64 v[2:5], v10 offset1:4
	ds_read2st64_b64 v[6:9], v10 offset0:8 offset1:12
	v_add_co_u32_e32 v0, vcc, s33, v28
	v_addc_co_u32_e64 v1, s[0:1], 0, 0, vcc
	s_waitcnt lgkmcnt(1)
	v_add_co_u32_e32 v2, vcc, v2, v4
	v_addc_co_u32_e32 v3, vcc, v3, v5, vcc
	s_waitcnt lgkmcnt(0)
	v_add_co_u32_e32 v6, vcc, v2, v6
	v_addc_co_u32_e32 v7, vcc, v3, v7, vcc
	ds_read2st64_b64 v[2:5], v10 offset0:16 offset1:20
	v_add_co_u32_e32 v6, vcc, v6, v8
	v_addc_co_u32_e32 v7, vcc, v7, v9, vcc
	s_waitcnt lgkmcnt(0)
	v_add_co_u32_e32 v2, vcc, v6, v2
	v_addc_co_u32_e32 v3, vcc, v7, v3, vcc
	ds_read2st64_b64 v[6:9], v10 offset0:24 offset1:28
	;; [unrolled: 6-line block ×6, first 2 shown]
	v_add_co_u32_e32 v2, vcc, v2, v4
	v_addc_co_u32_e32 v3, vcc, v3, v5, vcc
	s_waitcnt lgkmcnt(0)
	v_add_co_u32_e32 v2, vcc, v2, v6
	v_addc_co_u32_e32 v3, vcc, v3, v7, vcc
	v_add_co_u32_e32 v2, vcc, v2, v8
	v_addc_co_u32_e32 v3, vcc, v3, v9, vcc
	v_cmp_gt_i64_e32 vcc, s[12:13], v[0:1]
	ds_write_b64 v10, v[2:3]
	s_and_b64 exec, exec, vcc
	s_cbranch_execz .LBB28_137
; %bb.136:
	v_lshlrev_b64 v[0:1], 3, v[0:1]
	v_mov_b32_e32 v4, s21
	v_add_co_u32_e32 v0, vcc, s20, v0
	v_addc_co_u32_e32 v1, vcc, v4, v1, vcc
	global_store_dwordx2 v[0:1], v[2:3], off
.LBB28_137:
	s_endpgm
	.section	.rodata,"a",@progbits
	.p2align	6, 0x0
	.amdhsa_kernel _ZN9rocsparseL14nnz_kernel_rowILi64ELi16EllfEEv16rocsparse_order_T2_S2_PKT3_lPT1_
		.amdhsa_group_segment_fixed_size 32768
		.amdhsa_private_segment_fixed_size 0
		.amdhsa_kernarg_size 304
		.amdhsa_user_sgpr_count 6
		.amdhsa_user_sgpr_private_segment_buffer 1
		.amdhsa_user_sgpr_dispatch_ptr 0
		.amdhsa_user_sgpr_queue_ptr 0
		.amdhsa_user_sgpr_kernarg_segment_ptr 1
		.amdhsa_user_sgpr_dispatch_id 0
		.amdhsa_user_sgpr_flat_scratch_init 0
		.amdhsa_user_sgpr_private_segment_size 0
		.amdhsa_uses_dynamic_stack 0
		.amdhsa_system_sgpr_private_segment_wavefront_offset 0
		.amdhsa_system_sgpr_workgroup_id_x 1
		.amdhsa_system_sgpr_workgroup_id_y 0
		.amdhsa_system_sgpr_workgroup_id_z 0
		.amdhsa_system_sgpr_workgroup_info 0
		.amdhsa_system_vgpr_workitem_id 1
		.amdhsa_next_free_vgpr 39
		.amdhsa_next_free_sgpr 61
		.amdhsa_reserve_vcc 1
		.amdhsa_reserve_flat_scratch 0
		.amdhsa_float_round_mode_32 0
		.amdhsa_float_round_mode_16_64 0
		.amdhsa_float_denorm_mode_32 3
		.amdhsa_float_denorm_mode_16_64 3
		.amdhsa_dx10_clamp 1
		.amdhsa_ieee_mode 1
		.amdhsa_fp16_overflow 0
		.amdhsa_exception_fp_ieee_invalid_op 0
		.amdhsa_exception_fp_denorm_src 0
		.amdhsa_exception_fp_ieee_div_zero 0
		.amdhsa_exception_fp_ieee_overflow 0
		.amdhsa_exception_fp_ieee_underflow 0
		.amdhsa_exception_fp_ieee_inexact 0
		.amdhsa_exception_int_div_zero 0
	.end_amdhsa_kernel
	.section	.text._ZN9rocsparseL14nnz_kernel_rowILi64ELi16EllfEEv16rocsparse_order_T2_S2_PKT3_lPT1_,"axG",@progbits,_ZN9rocsparseL14nnz_kernel_rowILi64ELi16EllfEEv16rocsparse_order_T2_S2_PKT3_lPT1_,comdat
.Lfunc_end28:
	.size	_ZN9rocsparseL14nnz_kernel_rowILi64ELi16EllfEEv16rocsparse_order_T2_S2_PKT3_lPT1_, .Lfunc_end28-_ZN9rocsparseL14nnz_kernel_rowILi64ELi16EllfEEv16rocsparse_order_T2_S2_PKT3_lPT1_
                                        ; -- End function
	.set _ZN9rocsparseL14nnz_kernel_rowILi64ELi16EllfEEv16rocsparse_order_T2_S2_PKT3_lPT1_.num_vgpr, 39
	.set _ZN9rocsparseL14nnz_kernel_rowILi64ELi16EllfEEv16rocsparse_order_T2_S2_PKT3_lPT1_.num_agpr, 0
	.set _ZN9rocsparseL14nnz_kernel_rowILi64ELi16EllfEEv16rocsparse_order_T2_S2_PKT3_lPT1_.numbered_sgpr, 39
	.set _ZN9rocsparseL14nnz_kernel_rowILi64ELi16EllfEEv16rocsparse_order_T2_S2_PKT3_lPT1_.num_named_barrier, 0
	.set _ZN9rocsparseL14nnz_kernel_rowILi64ELi16EllfEEv16rocsparse_order_T2_S2_PKT3_lPT1_.private_seg_size, 0
	.set _ZN9rocsparseL14nnz_kernel_rowILi64ELi16EllfEEv16rocsparse_order_T2_S2_PKT3_lPT1_.uses_vcc, 1
	.set _ZN9rocsparseL14nnz_kernel_rowILi64ELi16EllfEEv16rocsparse_order_T2_S2_PKT3_lPT1_.uses_flat_scratch, 0
	.set _ZN9rocsparseL14nnz_kernel_rowILi64ELi16EllfEEv16rocsparse_order_T2_S2_PKT3_lPT1_.has_dyn_sized_stack, 0
	.set _ZN9rocsparseL14nnz_kernel_rowILi64ELi16EllfEEv16rocsparse_order_T2_S2_PKT3_lPT1_.has_recursion, 0
	.set _ZN9rocsparseL14nnz_kernel_rowILi64ELi16EllfEEv16rocsparse_order_T2_S2_PKT3_lPT1_.has_indirect_call, 0
	.section	.AMDGPU.csdata,"",@progbits
; Kernel info:
; codeLenInByte = 7232
; TotalNumSgprs: 43
; NumVgprs: 39
; ScratchSize: 0
; MemoryBound: 0
; FloatMode: 240
; IeeeMode: 1
; LDSByteSize: 32768 bytes/workgroup (compile time only)
; SGPRBlocks: 8
; VGPRBlocks: 9
; NumSGPRsForWavesPerEU: 65
; NumVGPRsForWavesPerEU: 39
; Occupancy: 6
; WaveLimiterHint : 0
; COMPUTE_PGM_RSRC2:SCRATCH_EN: 0
; COMPUTE_PGM_RSRC2:USER_SGPR: 6
; COMPUTE_PGM_RSRC2:TRAP_HANDLER: 0
; COMPUTE_PGM_RSRC2:TGID_X_EN: 1
; COMPUTE_PGM_RSRC2:TGID_Y_EN: 0
; COMPUTE_PGM_RSRC2:TGID_Z_EN: 0
; COMPUTE_PGM_RSRC2:TIDIG_COMP_CNT: 1
	.section	.text._ZN9rocsparseL14nnz_kernel_colILi256EllfEEv16rocsparse_order_T1_S2_PKT2_lPT0_,"axG",@progbits,_ZN9rocsparseL14nnz_kernel_colILi256EllfEEv16rocsparse_order_T1_S2_PKT2_lPT0_,comdat
	.globl	_ZN9rocsparseL14nnz_kernel_colILi256EllfEEv16rocsparse_order_T1_S2_PKT2_lPT0_ ; -- Begin function _ZN9rocsparseL14nnz_kernel_colILi256EllfEEv16rocsparse_order_T1_S2_PKT2_lPT0_
	.p2align	8
	.type	_ZN9rocsparseL14nnz_kernel_colILi256EllfEEv16rocsparse_order_T1_S2_PKT2_lPT0_,@function
_ZN9rocsparseL14nnz_kernel_colILi256EllfEEv16rocsparse_order_T1_S2_PKT2_lPT0_: ; @_ZN9rocsparseL14nnz_kernel_colILi256EllfEEv16rocsparse_order_T1_S2_PKT2_lPT0_
; %bb.0:
	s_load_dwordx2 s[12:13], s[4:5], 0x8
	s_load_dword s0, s[4:5], 0x0
	s_load_dwordx4 s[8:11], s[4:5], 0x18
	s_mov_b32 s7, 0
	v_mov_b32_e32 v1, 0
	s_waitcnt lgkmcnt(0)
	s_ashr_i32 s1, s13, 31
	s_lshr_b32 s1, s1, 24
	s_add_u32 s1, s12, s1
	s_addc_u32 s15, s13, 0
	s_and_b32 s14, s1, 0xffffff00
	s_cmp_eq_u32 s0, 1
	s_cbranch_scc1 .LBB29_6
; %bb.1:
	v_mov_b32_e32 v2, 0x100
	v_mov_b32_e32 v3, 0
	v_cmp_lt_i64_e32 vcc, s[12:13], v[2:3]
	v_mov_b32_e32 v2, 0
	v_mov_b32_e32 v3, 0
	s_cbranch_vccnz .LBB29_7
; %bb.2:
	v_mad_u64_u32 v[2:3], s[0:1], s10, v0, 0
	s_lshl_b64 s[0:1], s[6:7], 2
	s_add_u32 s0, s8, s0
	v_mad_u64_u32 v[3:4], s[2:3], s11, v0, v[3:4]
	s_addc_u32 s1, s9, s1
	v_mov_b32_e32 v5, s1
	v_lshlrev_b64 v[2:3], 2, v[2:3]
	s_lshl_b64 s[2:3], s[10:11], 10
	v_add_co_u32_e32 v4, vcc, s0, v2
	v_addc_co_u32_e32 v5, vcc, v5, v3, vcc
	v_mov_b32_e32 v2, 0
	v_mov_b32_e32 v6, s14
	s_mov_b64 s[16:17], 0
	v_mov_b32_e32 v3, 0
	v_mov_b32_e32 v8, s3
	v_mov_b32_e32 v7, s15
	s_branch .LBB29_4
.LBB29_3:                               ;   in Loop: Header=BB29_4 Depth=1
	s_or_b64 exec, exec, s[0:1]
	s_add_u32 s16, s16, 0x100
	s_addc_u32 s17, s17, 0
	v_cmp_ge_i64_e32 vcc, s[16:17], v[6:7]
	v_add_co_u32_e64 v4, s[0:1], s2, v4
	v_addc_co_u32_e64 v5, s[0:1], v5, v8, s[0:1]
	s_cbranch_vccnz .LBB29_7
.LBB29_4:                               ; =>This Inner Loop Header: Depth=1
	v_mov_b32_e32 v10, s17
	v_add_co_u32_e32 v9, vcc, s16, v0
	v_addc_co_u32_e32 v10, vcc, 0, v10, vcc
	v_cmp_gt_i64_e32 vcc, s[12:13], v[9:10]
	s_and_saveexec_b64 s[0:1], vcc
	s_cbranch_execz .LBB29_3
; %bb.5:                                ;   in Loop: Header=BB29_4 Depth=1
	global_load_dword v9, v[4:5], off
	s_waitcnt vmcnt(0)
	v_cmp_neq_f32_e32 vcc, 0, v9
	v_cndmask_b32_e64 v9, 0, 1, vcc
	v_add_co_u32_e32 v2, vcc, v2, v9
	v_addc_co_u32_e32 v3, vcc, 0, v3, vcc
	s_branch .LBB29_3
.LBB29_6:
                                        ; implicit-def: $vgpr2_vgpr3
	s_load_dwordx2 s[2:3], s[4:5], 0x28
	s_cbranch_execnz .LBB29_10
	s_branch .LBB29_16
.LBB29_7:
	v_mov_b32_e32 v5, s15
	v_add_co_u32_e32 v4, vcc, s14, v0
	v_addc_co_u32_e32 v5, vcc, 0, v5, vcc
	v_cmp_gt_i64_e32 vcc, s[12:13], v[4:5]
	s_and_saveexec_b64 s[0:1], vcc
	s_cbranch_execz .LBB29_9
; %bb.8:
	v_mul_lo_u32 v6, v5, s10
	v_mul_lo_u32 v7, v4, s11
	v_mad_u64_u32 v[4:5], s[2:3], v4, s10, 0
	s_lshl_b64 s[2:3], s[6:7], 2
	v_add3_u32 v5, v5, v7, v6
	v_lshlrev_b64 v[4:5], 2, v[4:5]
	v_mov_b32_e32 v6, s9
	v_add_co_u32_e32 v4, vcc, s8, v4
	v_addc_co_u32_e32 v5, vcc, v6, v5, vcc
	v_mov_b32_e32 v6, s3
	v_add_co_u32_e32 v4, vcc, s2, v4
	v_addc_co_u32_e32 v5, vcc, v5, v6, vcc
	global_load_dword v4, v[4:5], off
	s_waitcnt vmcnt(0)
	v_cmp_neq_f32_e32 vcc, 0, v4
	v_cndmask_b32_e64 v4, 0, 1, vcc
	v_add_co_u32_e32 v2, vcc, v2, v4
	v_addc_co_u32_e32 v3, vcc, 0, v3, vcc
.LBB29_9:
	s_or_b64 exec, exec, s[0:1]
	s_load_dwordx2 s[2:3], s[4:5], 0x28
	s_branch .LBB29_16
.LBB29_10:
	s_mul_i32 s0, s11, s6
	s_mul_hi_u32 s1, s10, s6
	s_add_i32 s1, s1, s0
	s_mul_i32 s0, s10, s6
	v_cmp_gt_i64_e32 vcc, s[12:13], v[0:1]
	s_lshl_b64 s[0:1], s[0:1], 2
	s_add_u32 s0, s8, s0
	v_cndmask_b32_e32 v1, 0, v0, vcc
	s_addc_u32 s1, s9, s1
	v_lshlrev_b32_e32 v3, 2, v1
	v_mov_b32_e32 v5, s1
	v_mov_b32_e32 v1, 0x100
	v_add_co_u32_e32 v4, vcc, s0, v3
	v_mov_b32_e32 v2, 0
	v_addc_co_u32_e32 v5, vcc, 0, v5, vcc
	v_cmp_lt_i64_e32 vcc, s[12:13], v[1:2]
	v_mov_b32_e32 v2, 0
	v_mov_b32_e32 v3, 0
	s_cbranch_vccnz .LBB29_13
; %bb.11:
	v_mov_b32_e32 v2, 0
	v_mov_b32_e32 v6, s14
	;; [unrolled: 1-line block ×3, first 2 shown]
	s_mov_b64 s[4:5], 0
	v_mov_b32_e32 v3, 0
	v_mov_b32_e32 v7, s15
	;; [unrolled: 1-line block ×3, first 2 shown]
.LBB29_12:                              ; =>This Inner Loop Header: Depth=1
	global_load_dword v1, v[8:9], off
	s_add_u32 s4, s4, 0x100
	v_add_co_u32_e32 v8, vcc, 0x400, v8
	s_addc_u32 s5, s5, 0
	v_addc_co_u32_e32 v9, vcc, 0, v9, vcc
	v_cmp_ge_i64_e32 vcc, s[4:5], v[6:7]
	s_and_b64 vcc, exec, vcc
	s_waitcnt vmcnt(0)
	v_cmp_neq_f32_e64 s[0:1], 0, v1
	v_cndmask_b32_e64 v1, 0, 1, s[0:1]
	v_add_co_u32_e64 v2, s[0:1], v2, v1
	v_addc_co_u32_e64 v3, s[0:1], 0, v3, s[0:1]
	s_cbranch_vccz .LBB29_12
.LBB29_13:
	v_mov_b32_e32 v1, s15
	v_add_co_u32_e32 v6, vcc, s14, v0
	v_addc_co_u32_e32 v7, vcc, 0, v1, vcc
	v_cmp_gt_i64_e32 vcc, s[12:13], v[6:7]
	s_and_saveexec_b64 s[0:1], vcc
	s_cbranch_execz .LBB29_15
; %bb.14:
	s_lshl_b64 s[4:5], s[14:15], 2
	v_mov_b32_e32 v1, s5
	v_add_co_u32_e32 v4, vcc, s4, v4
	v_addc_co_u32_e32 v5, vcc, v5, v1, vcc
	global_load_dword v1, v[4:5], off
	s_waitcnt vmcnt(0)
	v_cmp_neq_f32_e32 vcc, 0, v1
	v_cndmask_b32_e64 v1, 0, 1, vcc
	v_add_co_u32_e32 v2, vcc, v2, v1
	v_addc_co_u32_e32 v3, vcc, 0, v3, vcc
.LBB29_15:
	s_or_b64 exec, exec, s[0:1]
.LBB29_16:
	v_mov_b32_e32 v5, 0x100
	v_mov_b32_e32 v6, 0
	v_cmp_lt_i64_e32 vcc, s[12:13], v[5:6]
	v_lshlrev_b32_e32 v4, 3, v0
	s_mov_b64 s[4:5], -1
	v_cmp_eq_u32_e64 s[0:1], 0, v0
	ds_write_b64 v4, v[2:3]
	s_waitcnt lgkmcnt(0)
	s_cbranch_vccnz .LBB29_20
; %bb.17:
	s_and_b64 vcc, exec, s[4:5]
	s_cbranch_vccnz .LBB29_29
.LBB29_18:
	v_cmp_eq_u32_e32 vcc, 0, v0
	s_and_saveexec_b64 s[0:1], vcc
	s_cbranch_execnz .LBB29_46
.LBB29_19:
	s_endpgm
.LBB29_20:
	v_cmp_gt_i64_e64 s[4:5], s[12:13], 1
	s_mov_b64 s[8:9], 1
	s_and_b64 s[4:5], s[0:1], s[4:5]
	s_barrier
	s_and_saveexec_b64 s[0:1], s[4:5]
	s_cbranch_execz .LBB29_28
; %bb.21:
	s_add_u32 s9, s12, -1
	v_mov_b32_e32 v1, 0
	s_addc_u32 s5, s13, -1
	ds_read_b64 v[1:2], v1
	s_add_u32 s10, s12, -2
	s_addc_u32 s11, s13, -1
	v_cmp_lt_u64_e64 s[10:11], s[10:11], 7
	s_and_b64 vcc, exec, s[10:11]
	s_cbranch_vccnz .LBB29_24
; %bb.22:
	s_and_b32 s4, s9, -8
	s_mov_b64 s[10:11], 0
	s_mov_b32 s12, 8
.LBB29_23:                              ; =>This Inner Loop Header: Depth=1
	v_mov_b32_e32 v3, s12
	ds_read2_b64 v[5:8], v3 offset1:1
	ds_read2_b64 v[9:12], v3 offset0:2 offset1:3
	ds_read2_b64 v[13:16], v3 offset0:4 offset1:5
	ds_read2_b64 v[17:20], v3 offset0:6 offset1:7
	s_add_u32 s14, s10, 8
	s_waitcnt lgkmcnt(3)
	v_add_co_u32_e32 v1, vcc, v1, v5
	v_addc_co_u32_e32 v2, vcc, v2, v6, vcc
	v_add_co_u32_e32 v1, vcc, v1, v7
	v_addc_co_u32_e32 v2, vcc, v2, v8, vcc
	s_waitcnt lgkmcnt(2)
	v_add_co_u32_e32 v1, vcc, v1, v9
	v_addc_co_u32_e32 v2, vcc, v2, v10, vcc
	v_add_co_u32_e32 v1, vcc, v1, v11
	v_addc_co_u32_e32 v2, vcc, v2, v12, vcc
	;; [unrolled: 5-line block ×3, first 2 shown]
	s_waitcnt lgkmcnt(0)
	v_add_co_u32_e32 v1, vcc, v1, v17
	v_addc_co_u32_e32 v2, vcc, v2, v18, vcc
	s_addc_u32 s15, s11, 0
	s_add_i32 s12, s12, 64
	s_add_u32 s8, s10, 9
	v_add_co_u32_e32 v1, vcc, v1, v19
	s_cmp_lg_u64 s[4:5], s[14:15]
	s_mov_b64 s[10:11], s[14:15]
	v_addc_co_u32_e32 v2, vcc, v2, v20, vcc
	s_cbranch_scc1 .LBB29_23
.LBB29_24:
	s_and_b32 s4, s9, 7
	s_mov_b32 s5, 0
	s_cmp_eq_u64 s[4:5], 0
	s_cbranch_scc1 .LBB29_27
; %bb.25:
	s_lshl_b32 s8, s8, 3
.LBB29_26:                              ; =>This Inner Loop Header: Depth=1
	v_mov_b32_e32 v3, s8
	ds_read_b64 v[5:6], v3
	s_add_i32 s8, s8, 8
	s_add_u32 s4, s4, -1
	s_addc_u32 s5, s5, -1
	s_cmp_lg_u64 s[4:5], 0
	s_waitcnt lgkmcnt(0)
	v_add_co_u32_e32 v1, vcc, v1, v5
	v_addc_co_u32_e32 v2, vcc, v2, v6, vcc
	s_cbranch_scc1 .LBB29_26
.LBB29_27:
	v_mov_b32_e32 v3, 0
	s_waitcnt lgkmcnt(0)
	ds_write_b64 v3, v[1:2]
.LBB29_28:
	s_or_b64 exec, exec, s[0:1]
	s_waitcnt lgkmcnt(0)
	s_barrier
	s_branch .LBB29_18
.LBB29_29:
	s_movk_i32 s0, 0x80
	v_cmp_gt_u32_e32 vcc, s0, v0
	s_barrier
	s_and_saveexec_b64 s[0:1], vcc
	s_cbranch_execz .LBB29_31
; %bb.30:
	ds_read2st64_b64 v[5:8], v4 offset1:2
	s_waitcnt lgkmcnt(0)
	v_add_co_u32_e32 v1, vcc, v5, v7
	v_addc_co_u32_e32 v2, vcc, v6, v8, vcc
	ds_write_b64 v4, v[1:2]
.LBB29_31:
	s_or_b64 exec, exec, s[0:1]
	v_cmp_gt_u32_e32 vcc, 64, v0
	s_waitcnt lgkmcnt(0)
	s_barrier
	s_and_saveexec_b64 s[0:1], vcc
	s_cbranch_execz .LBB29_33
; %bb.32:
	ds_read2st64_b64 v[5:8], v4 offset1:1
	s_waitcnt lgkmcnt(0)
	v_add_co_u32_e32 v1, vcc, v5, v7
	v_addc_co_u32_e32 v2, vcc, v6, v8, vcc
	ds_write_b64 v4, v[1:2]
.LBB29_33:
	s_or_b64 exec, exec, s[0:1]
	v_cmp_gt_u32_e32 vcc, 32, v0
	s_waitcnt lgkmcnt(0)
	s_barrier
	s_and_saveexec_b64 s[0:1], vcc
	s_cbranch_execz .LBB29_35
; %bb.34:
	ds_read2_b64 v[5:8], v4 offset1:32
	s_waitcnt lgkmcnt(0)
	v_add_co_u32_e32 v1, vcc, v5, v7
	v_addc_co_u32_e32 v2, vcc, v6, v8, vcc
	ds_write_b64 v4, v[1:2]
.LBB29_35:
	s_or_b64 exec, exec, s[0:1]
	v_cmp_gt_u32_e32 vcc, 16, v0
	s_waitcnt lgkmcnt(0)
	s_barrier
	s_and_saveexec_b64 s[0:1], vcc
	s_cbranch_execz .LBB29_37
; %bb.36:
	ds_read2_b64 v[5:8], v4 offset1:16
	s_waitcnt lgkmcnt(0)
	v_add_co_u32_e32 v1, vcc, v5, v7
	v_addc_co_u32_e32 v2, vcc, v6, v8, vcc
	ds_write_b64 v4, v[1:2]
.LBB29_37:
	;; [unrolled: 13-line block ×5, first 2 shown]
	s_or_b64 exec, exec, s[0:1]
	v_cmp_eq_u32_e32 vcc, 0, v0
	s_waitcnt lgkmcnt(0)
	s_barrier
	s_and_saveexec_b64 s[0:1], vcc
	s_cbranch_execz .LBB29_45
; %bb.44:
	v_mov_b32_e32 v5, 0
	ds_read_b128 v[1:4], v5
	s_waitcnt lgkmcnt(0)
	v_add_co_u32_e32 v1, vcc, v1, v3
	v_addc_co_u32_e32 v2, vcc, v2, v4, vcc
	ds_write_b64 v5, v[1:2]
.LBB29_45:
	s_or_b64 exec, exec, s[0:1]
	s_waitcnt lgkmcnt(0)
	s_barrier
	v_cmp_eq_u32_e32 vcc, 0, v0
	s_and_saveexec_b64 s[0:1], vcc
	s_cbranch_execz .LBB29_19
.LBB29_46:
	v_mov_b32_e32 v2, 0
	ds_read_b64 v[0:1], v2
	s_lshl_b64 s[0:1], s[6:7], 3
	s_add_u32 s0, s2, s0
	s_addc_u32 s1, s3, s1
	s_waitcnt lgkmcnt(0)
	global_store_dwordx2 v2, v[0:1], s[0:1]
	s_endpgm
	.section	.rodata,"a",@progbits
	.p2align	6, 0x0
	.amdhsa_kernel _ZN9rocsparseL14nnz_kernel_colILi256EllfEEv16rocsparse_order_T1_S2_PKT2_lPT0_
		.amdhsa_group_segment_fixed_size 2048
		.amdhsa_private_segment_fixed_size 0
		.amdhsa_kernarg_size 48
		.amdhsa_user_sgpr_count 6
		.amdhsa_user_sgpr_private_segment_buffer 1
		.amdhsa_user_sgpr_dispatch_ptr 0
		.amdhsa_user_sgpr_queue_ptr 0
		.amdhsa_user_sgpr_kernarg_segment_ptr 1
		.amdhsa_user_sgpr_dispatch_id 0
		.amdhsa_user_sgpr_flat_scratch_init 0
		.amdhsa_user_sgpr_private_segment_size 0
		.amdhsa_uses_dynamic_stack 0
		.amdhsa_system_sgpr_private_segment_wavefront_offset 0
		.amdhsa_system_sgpr_workgroup_id_x 1
		.amdhsa_system_sgpr_workgroup_id_y 0
		.amdhsa_system_sgpr_workgroup_id_z 0
		.amdhsa_system_sgpr_workgroup_info 0
		.amdhsa_system_vgpr_workitem_id 0
		.amdhsa_next_free_vgpr 21
		.amdhsa_next_free_sgpr 18
		.amdhsa_reserve_vcc 1
		.amdhsa_reserve_flat_scratch 0
		.amdhsa_float_round_mode_32 0
		.amdhsa_float_round_mode_16_64 0
		.amdhsa_float_denorm_mode_32 3
		.amdhsa_float_denorm_mode_16_64 3
		.amdhsa_dx10_clamp 1
		.amdhsa_ieee_mode 1
		.amdhsa_fp16_overflow 0
		.amdhsa_exception_fp_ieee_invalid_op 0
		.amdhsa_exception_fp_denorm_src 0
		.amdhsa_exception_fp_ieee_div_zero 0
		.amdhsa_exception_fp_ieee_overflow 0
		.amdhsa_exception_fp_ieee_underflow 0
		.amdhsa_exception_fp_ieee_inexact 0
		.amdhsa_exception_int_div_zero 0
	.end_amdhsa_kernel
	.section	.text._ZN9rocsparseL14nnz_kernel_colILi256EllfEEv16rocsparse_order_T1_S2_PKT2_lPT0_,"axG",@progbits,_ZN9rocsparseL14nnz_kernel_colILi256EllfEEv16rocsparse_order_T1_S2_PKT2_lPT0_,comdat
.Lfunc_end29:
	.size	_ZN9rocsparseL14nnz_kernel_colILi256EllfEEv16rocsparse_order_T1_S2_PKT2_lPT0_, .Lfunc_end29-_ZN9rocsparseL14nnz_kernel_colILi256EllfEEv16rocsparse_order_T1_S2_PKT2_lPT0_
                                        ; -- End function
	.set _ZN9rocsparseL14nnz_kernel_colILi256EllfEEv16rocsparse_order_T1_S2_PKT2_lPT0_.num_vgpr, 21
	.set _ZN9rocsparseL14nnz_kernel_colILi256EllfEEv16rocsparse_order_T1_S2_PKT2_lPT0_.num_agpr, 0
	.set _ZN9rocsparseL14nnz_kernel_colILi256EllfEEv16rocsparse_order_T1_S2_PKT2_lPT0_.numbered_sgpr, 18
	.set _ZN9rocsparseL14nnz_kernel_colILi256EllfEEv16rocsparse_order_T1_S2_PKT2_lPT0_.num_named_barrier, 0
	.set _ZN9rocsparseL14nnz_kernel_colILi256EllfEEv16rocsparse_order_T1_S2_PKT2_lPT0_.private_seg_size, 0
	.set _ZN9rocsparseL14nnz_kernel_colILi256EllfEEv16rocsparse_order_T1_S2_PKT2_lPT0_.uses_vcc, 1
	.set _ZN9rocsparseL14nnz_kernel_colILi256EllfEEv16rocsparse_order_T1_S2_PKT2_lPT0_.uses_flat_scratch, 0
	.set _ZN9rocsparseL14nnz_kernel_colILi256EllfEEv16rocsparse_order_T1_S2_PKT2_lPT0_.has_dyn_sized_stack, 0
	.set _ZN9rocsparseL14nnz_kernel_colILi256EllfEEv16rocsparse_order_T1_S2_PKT2_lPT0_.has_recursion, 0
	.set _ZN9rocsparseL14nnz_kernel_colILi256EllfEEv16rocsparse_order_T1_S2_PKT2_lPT0_.has_indirect_call, 0
	.section	.AMDGPU.csdata,"",@progbits
; Kernel info:
; codeLenInByte = 1572
; TotalNumSgprs: 22
; NumVgprs: 21
; ScratchSize: 0
; MemoryBound: 0
; FloatMode: 240
; IeeeMode: 1
; LDSByteSize: 2048 bytes/workgroup (compile time only)
; SGPRBlocks: 2
; VGPRBlocks: 5
; NumSGPRsForWavesPerEU: 22
; NumVGPRsForWavesPerEU: 21
; Occupancy: 10
; WaveLimiterHint : 0
; COMPUTE_PGM_RSRC2:SCRATCH_EN: 0
; COMPUTE_PGM_RSRC2:USER_SGPR: 6
; COMPUTE_PGM_RSRC2:TRAP_HANDLER: 0
; COMPUTE_PGM_RSRC2:TGID_X_EN: 1
; COMPUTE_PGM_RSRC2:TGID_Y_EN: 0
; COMPUTE_PGM_RSRC2:TGID_Z_EN: 0
; COMPUTE_PGM_RSRC2:TIDIG_COMP_CNT: 0
	.section	.text._ZN9rocsparseL14nnz_kernel_rowILi64ELi16ElldEEv16rocsparse_order_T2_S2_PKT3_lPT1_,"axG",@progbits,_ZN9rocsparseL14nnz_kernel_rowILi64ELi16ElldEEv16rocsparse_order_T2_S2_PKT3_lPT1_,comdat
	.globl	_ZN9rocsparseL14nnz_kernel_rowILi64ELi16ElldEEv16rocsparse_order_T2_S2_PKT3_lPT1_ ; -- Begin function _ZN9rocsparseL14nnz_kernel_rowILi64ELi16ElldEEv16rocsparse_order_T2_S2_PKT3_lPT1_
	.p2align	8
	.type	_ZN9rocsparseL14nnz_kernel_rowILi64ELi16ElldEEv16rocsparse_order_T2_S2_PKT3_lPT1_,@function
_ZN9rocsparseL14nnz_kernel_rowILi64ELi16ElldEEv16rocsparse_order_T2_S2_PKT3_lPT1_: ; @_ZN9rocsparseL14nnz_kernel_rowILi64ELi16ElldEEv16rocsparse_order_T2_S2_PKT3_lPT1_
; %bb.0:
	s_load_dword s0, s[4:5], 0x3c
	s_load_dwordx2 s[24:25], s[4:5], 0x28
	s_load_dword s42, s[4:5], 0x0
	s_load_dwordx8 s[16:23], s[4:5], 0x8
	s_lshl_b32 s33, s6, 8
	s_waitcnt lgkmcnt(0)
	s_and_b32 s0, s0, 0xffff
	v_mad_u32_u24 v28, v1, s0, v0
	v_mov_b32_e32 v19, 0
	s_ashr_i32 s0, s19, 31
	s_lshr_b32 s0, s0, 26
	s_add_u32 s0, s18, s0
	v_lshrrev_b32_e32 v0, 4, v28
	v_and_b32_e32 v29, 63, v28
	s_addc_u32 s29, s19, 0
	s_and_b32 s28, s0, 0xffffffc0
	v_and_b32_e32 v16, 0x7ffffc, v0
	v_mov_b32_e32 v17, v19
	v_or_b32_e32 v18, s33, v29
	s_sub_u32 s26, s18, s28
	v_cmp_gt_i64_e32 vcc, s[28:29], v[16:17]
	s_subb_u32 s27, s19, s29
	v_mov_b32_e32 v0, v19
	v_mov_b32_e32 v1, v19
	;; [unrolled: 1-line block ×8, first 2 shown]
	v_or_b32_e32 v20, 64, v18
	s_and_saveexec_b64 s[30:31], vcc
	s_cbranch_execz .LBB30_28
; %bb.1:
	v_or_b32_e32 v0, 0x80, v18
	v_mov_b32_e32 v1, v19
	v_cmp_gt_i64_e64 s[0:1], s[16:17], v[0:1]
	v_add_co_u32_e32 v0, vcc, s33, v29
	v_addc_co_u32_e64 v1, s[2:3], 0, 0, vcc
	v_mul_lo_u32 v6, s23, v0
	v_mul_lo_u32 v7, s22, v1
	v_mad_u64_u32 v[2:3], s[2:3], s22, v0, 0
	v_or_b32_e32 v4, 0xc0, v18
	v_mov_b32_e32 v5, v19
	v_cmp_gt_i64_e64 s[2:3], s[16:17], v[4:5]
	v_add_co_u32_e32 v4, vcc, 64, v0
	v_addc_co_u32_e32 v5, vcc, 0, v1, vcc
	v_add3_u32 v3, v3, v7, v6
	v_mul_lo_u32 v7, s23, v4
	v_mul_lo_u32 v9, s22, v5
	v_mad_u64_u32 v[4:5], s[4:5], s22, v4, 0
	v_lshlrev_b64 v[2:3], 3, v[2:3]
	v_lshrrev_b32_e32 v6, 6, v28
	v_lshlrev_b32_e32 v8, 5, v6
	v_add_co_u32_e32 v26, vcc, v2, v8
	s_movk_i32 s6, 0x80
	v_addc_co_u32_e32 v27, vcc, 0, v3, vcc
	v_add3_u32 v5, v5, v9, v7
	v_lshlrev_b64 v[2:3], 3, v[4:5]
	v_add_co_u32_e32 v4, vcc, s6, v0
	v_addc_co_u32_e32 v5, vcc, 0, v1, vcc
	v_mul_lo_u32 v7, s23, v4
	v_mul_lo_u32 v9, s22, v5
	v_mad_u64_u32 v[4:5], s[4:5], s22, v4, 0
	v_add_co_u32_e32 v30, vcc, v2, v8
	s_movk_i32 s7, 0xc0
	v_addc_co_u32_e32 v31, vcc, 0, v3, vcc
	v_add3_u32 v5, v5, v9, v7
	v_lshlrev_b64 v[2:3], 3, v[4:5]
	v_add_co_u32_e32 v4, vcc, s7, v0
	v_addc_co_u32_e32 v5, vcc, 0, v1, vcc
	v_mul_lo_u32 v7, s23, v4
	v_mul_lo_u32 v9, s22, v5
	v_mad_u64_u32 v[4:5], s[4:5], s22, v4, 0
	v_lshlrev_b64 v[0:1], 3, v[0:1]
	v_or_b32_e32 v10, 24, v8
	v_mad_u64_u32 v[22:23], s[4:5], s22, v10, v[0:1]
	v_add_co_u32_e32 v32, vcc, v2, v8
	v_add3_u32 v5, v5, v9, v7
	v_addc_co_u32_e32 v33, vcc, 0, v3, vcc
	v_lshlrev_b64 v[2:3], 3, v[4:5]
	v_mov_b32_e32 v4, v23
	v_add_co_u32_e32 v34, vcc, v2, v8
	v_or_b32_e32 v7, 16, v8
	v_mad_u64_u32 v[4:5], s[4:5], s23, v10, v[4:5]
	v_addc_co_u32_e32 v35, vcc, 0, v3, vcc
	v_mad_u64_u32 v[2:3], s[4:5], s22, v6, 0
	v_mad_u64_u32 v[23:24], s[4:5], s22, v7, v[0:1]
	;; [unrolled: 1-line block ×3, first 2 shown]
	v_mov_b32_e32 v3, v24
	v_mad_u64_u32 v[6:7], s[4:5], s23, v7, v[3:4]
	v_or_b32_e32 v7, 8, v8
	v_mad_u64_u32 v[24:25], s[4:5], s22, v7, v[0:1]
	v_mov_b32_e32 v36, v4
	v_mov_b32_e32 v3, v5
	;; [unrolled: 1-line block ×3, first 2 shown]
	v_mad_u64_u32 v[4:5], s[4:5], s23, v7, v[4:5]
	v_lshlrev_b64 v[2:3], 5, v[2:3]
	v_mov_b32_e32 v21, v19
	s_cmp_lg_u32 s42, 1
	v_cmp_gt_i64_e64 s[4:5], s[16:17], v[18:19]
	v_cmp_gt_i64_e64 s[6:7], s[16:17], v[20:21]
	v_add_co_u32_e32 v25, vcc, v2, v0
	v_mov_b32_e32 v37, v6
	s_cselect_b64 s[34:35], -1, 0
	s_lshl_b64 s[36:37], s[22:23], 9
	v_mov_b32_e32 v21, v4
	v_addc_co_u32_e32 v38, vcc, v3, v1, vcc
	v_mov_b32_e32 v0, v19
	v_mov_b32_e32 v1, v19
	;; [unrolled: 1-line block ×8, first 2 shown]
	s_mov_b64 s[38:39], 0
	s_branch .LBB30_4
.LBB30_2:                               ;   in Loop: Header=BB30_4 Depth=1
	v_mov_b32_e32 v0, v8
	v_mov_b32_e32 v1, v9
	;; [unrolled: 1-line block ×8, first 2 shown]
.LBB30_3:                               ;   in Loop: Header=BB30_4 Depth=1
	s_or_b64 exec, exec, s[10:11]
	v_add_co_u32_e32 v16, vcc, 64, v16
	v_addc_co_u32_e32 v17, vcc, 0, v17, vcc
	v_add_co_u32_e32 v26, vcc, 0x200, v26
	v_addc_co_u32_e32 v27, vcc, 0, v27, vcc
	v_add_co_u32_e32 v30, vcc, 0x200, v30
	v_addc_co_u32_e32 v31, vcc, 0, v31, vcc
	v_add_co_u32_e32 v32, vcc, 0x200, v32
	v_addc_co_u32_e32 v33, vcc, 0, v33, vcc
	v_add_co_u32_e32 v34, vcc, 0x200, v34
	v_addc_co_u32_e32 v35, vcc, 0, v35, vcc
	v_mov_b32_e32 v8, s37
	v_add_co_u32_e32 v22, vcc, s36, v22
	v_addc_co_u32_e32 v36, vcc, v36, v8, vcc
	v_add_co_u32_e32 v23, vcc, s36, v23
	v_addc_co_u32_e32 v37, vcc, v37, v8, vcc
	v_cmp_le_i64_e32 vcc, s[28:29], v[16:17]
	v_add_co_u32_e64 v24, s[8:9], s36, v24
	s_or_b64 s[38:39], vcc, s[38:39]
	v_add_co_u32_e32 v25, vcc, s36, v25
	v_addc_co_u32_e64 v21, s[8:9], v21, v8, s[8:9]
	v_addc_co_u32_e32 v38, vcc, v38, v8, vcc
	s_andn2_b64 exec, exec, s[38:39]
	s_cbranch_execz .LBB30_27
.LBB30_4:                               ; =>This Inner Loop Header: Depth=1
	v_cndmask_b32_e64 v8, 0, 1, s[34:35]
	v_cmp_ne_u32_e64 s[8:9], 1, v8
	s_and_saveexec_b64 s[40:41], s[4:5]
	s_cbranch_execnz .LBB30_8
; %bb.5:                                ;   in Loop: Header=BB30_4 Depth=1
	s_or_b64 exec, exec, s[40:41]
	s_and_saveexec_b64 s[10:11], s[6:7]
	s_cbranch_execnz .LBB30_13
.LBB30_6:                               ;   in Loop: Header=BB30_4 Depth=1
	s_or_b64 exec, exec, s[10:11]
	s_and_saveexec_b64 s[10:11], s[0:1]
	s_cbranch_execnz .LBB30_18
.LBB30_7:                               ;   in Loop: Header=BB30_4 Depth=1
	s_or_b64 exec, exec, s[10:11]
	s_and_saveexec_b64 s[10:11], s[2:3]
	s_cbranch_execz .LBB30_3
	s_branch .LBB30_23
.LBB30_8:                               ;   in Loop: Header=BB30_4 Depth=1
	s_and_b64 vcc, exec, s[8:9]
	s_mov_b64 s[10:11], -1
                                        ; implicit-def: $vgpr8_vgpr9_vgpr10_vgpr11_vgpr12_vgpr13_vgpr14_vgpr15
	s_cbranch_vccnz .LBB30_10
; %bb.9:                                ;   in Loop: Header=BB30_4 Depth=1
	v_mov_b32_e32 v9, s21
	v_add_co_u32_e32 v8, vcc, s20, v26
	v_addc_co_u32_e32 v9, vcc, v9, v27, vcc
	global_load_dwordx4 v[39:42], v[8:9], off
	global_load_dwordx4 v[43:46], v[8:9], off offset:16
	v_add_co_u32_e32 v8, vcc, 1, v0
	v_addc_co_u32_e32 v9, vcc, 0, v1, vcc
	v_mov_b32_e32 v10, v2
	v_mov_b32_e32 v11, v3
	v_mov_b32_e32 v12, v4
	v_mov_b32_e32 v13, v5
	v_mov_b32_e32 v14, v6
	v_mov_b32_e32 v15, v7
	s_waitcnt vmcnt(1)
	v_cmp_neq_f64_e64 s[10:11], 0, v[39:40]
	v_cmp_neq_f64_e32 vcc, 0, v[41:42]
	s_waitcnt vmcnt(0)
	v_cmp_neq_f64_e64 s[12:13], 0, v[43:44]
	v_cmp_neq_f64_e64 s[14:15], 0, v[45:46]
	v_cndmask_b32_e64 v8, v0, v8, s[10:11]
	v_cndmask_b32_e64 v9, v1, v9, s[10:11]
	v_add_co_u32_e64 v39, s[10:11], 1, v8
	v_addc_co_u32_e64 v40, s[10:11], 0, v9, s[10:11]
	v_cndmask_b32_e32 v8, v8, v39, vcc
	v_cndmask_b32_e32 v9, v9, v40, vcc
	v_add_co_u32_e32 v39, vcc, 1, v8
	v_addc_co_u32_e32 v40, vcc, 0, v9, vcc
	v_cndmask_b32_e64 v8, v8, v39, s[12:13]
	v_cndmask_b32_e64 v9, v9, v40, s[12:13]
	v_add_co_u32_e32 v39, vcc, 1, v8
	v_addc_co_u32_e32 v40, vcc, 0, v9, vcc
	v_cndmask_b32_e64 v8, v8, v39, s[14:15]
	v_cndmask_b32_e64 v9, v9, v40, s[14:15]
	s_mov_b64 s[10:11], 0
.LBB30_10:                              ;   in Loop: Header=BB30_4 Depth=1
	s_andn2_b64 vcc, exec, s[10:11]
	s_cbranch_vccnz .LBB30_12
; %bb.11:                               ;   in Loop: Header=BB30_4 Depth=1
	v_mov_b32_e32 v9, s21
	v_add_co_u32_e32 v8, vcc, s20, v25
	v_addc_co_u32_e32 v9, vcc, v9, v38, vcc
	global_load_dwordx2 v[8:9], v[8:9], off
	v_mov_b32_e32 v11, s21
	v_add_co_u32_e32 v10, vcc, s20, v24
	v_addc_co_u32_e32 v11, vcc, v11, v21, vcc
	global_load_dwordx2 v[10:11], v[10:11], off
	;; [unrolled: 4-line block ×4, first 2 shown]
	v_add_co_u32_e32 v39, vcc, 1, v0
	v_addc_co_u32_e32 v40, vcc, 0, v1, vcc
	s_waitcnt vmcnt(3)
	v_cmp_neq_f64_e32 vcc, 0, v[8:9]
	v_cndmask_b32_e32 v0, v0, v39, vcc
	v_cndmask_b32_e32 v1, v1, v40, vcc
	v_add_co_u32_e32 v8, vcc, 1, v0
	v_addc_co_u32_e32 v9, vcc, 0, v1, vcc
	s_waitcnt vmcnt(2)
	v_cmp_neq_f64_e32 vcc, 0, v[10:11]
	v_cndmask_b32_e32 v0, v0, v8, vcc
	v_cndmask_b32_e32 v1, v1, v9, vcc
	;; [unrolled: 6-line block ×4, first 2 shown]
	v_mov_b32_e32 v15, v7
	v_mov_b32_e32 v14, v6
	;; [unrolled: 1-line block ×8, first 2 shown]
.LBB30_12:                              ;   in Loop: Header=BB30_4 Depth=1
	v_mov_b32_e32 v0, v8
	v_mov_b32_e32 v1, v9
	v_mov_b32_e32 v2, v10
	v_mov_b32_e32 v3, v11
	v_mov_b32_e32 v4, v12
	v_mov_b32_e32 v5, v13
	v_mov_b32_e32 v6, v14
	v_mov_b32_e32 v7, v15
	s_or_b64 exec, exec, s[40:41]
	s_and_saveexec_b64 s[10:11], s[6:7]
	s_cbranch_execz .LBB30_6
.LBB30_13:                              ;   in Loop: Header=BB30_4 Depth=1
	s_and_b64 vcc, exec, s[8:9]
	s_mov_b64 s[12:13], -1
                                        ; implicit-def: $vgpr8_vgpr9_vgpr10_vgpr11_vgpr12_vgpr13_vgpr14_vgpr15
	s_cbranch_vccnz .LBB30_15
; %bb.14:                               ;   in Loop: Header=BB30_4 Depth=1
	v_mov_b32_e32 v8, s21
	v_add_co_u32_e32 v12, vcc, s20, v30
	v_addc_co_u32_e32 v13, vcc, v8, v31, vcc
	global_load_dwordx4 v[8:11], v[12:13], off
	s_nop 0
	global_load_dwordx4 v[12:15], v[12:13], off offset:16
	v_add_co_u32_e32 v39, vcc, 1, v2
	v_addc_co_u32_e32 v40, vcc, 0, v3, vcc
	s_mov_b64 s[12:13], 0
	s_waitcnt vmcnt(1)
	v_cmp_neq_f64_e32 vcc, 0, v[8:9]
	v_cndmask_b32_e32 v9, v2, v39, vcc
	v_cndmask_b32_e32 v8, v3, v40, vcc
	v_add_co_u32_e32 v39, vcc, 1, v9
	v_addc_co_u32_e32 v40, vcc, 0, v8, vcc
	v_cmp_neq_f64_e32 vcc, 0, v[10:11]
	v_cndmask_b32_e32 v9, v9, v39, vcc
	v_cndmask_b32_e32 v8, v8, v40, vcc
	v_add_co_u32_e32 v10, vcc, 1, v9
	v_addc_co_u32_e32 v11, vcc, 0, v8, vcc
	s_waitcnt vmcnt(0)
	v_cmp_neq_f64_e32 vcc, 0, v[12:13]
	v_mov_b32_e32 v12, v4
	v_mov_b32_e32 v13, v5
	v_cndmask_b32_e32 v10, v9, v10, vcc
	v_cndmask_b32_e32 v11, v8, v11, vcc
	v_add_co_u32_e32 v39, vcc, 1, v10
	v_addc_co_u32_e32 v40, vcc, 0, v11, vcc
	v_cmp_neq_f64_e32 vcc, 0, v[14:15]
	v_mov_b32_e32 v8, v0
	v_mov_b32_e32 v9, v1
	;; [unrolled: 1-line block ×4, first 2 shown]
	v_cndmask_b32_e32 v11, v11, v40, vcc
	v_cndmask_b32_e32 v10, v10, v39, vcc
.LBB30_15:                              ;   in Loop: Header=BB30_4 Depth=1
	s_andn2_b64 vcc, exec, s[12:13]
	s_cbranch_vccnz .LBB30_17
; %bb.16:                               ;   in Loop: Header=BB30_4 Depth=1
	v_mov_b32_e32 v9, s21
	v_add_co_u32_e32 v8, vcc, s20, v25
	v_addc_co_u32_e32 v9, vcc, v9, v38, vcc
	global_load_dwordx2 v[8:9], v[8:9], off offset:512
	v_mov_b32_e32 v11, s21
	v_add_co_u32_e32 v10, vcc, s20, v24
	v_addc_co_u32_e32 v11, vcc, v11, v21, vcc
	global_load_dwordx2 v[10:11], v[10:11], off offset:512
	;; [unrolled: 4-line block ×4, first 2 shown]
	v_add_co_u32_e32 v39, vcc, 1, v2
	v_addc_co_u32_e32 v40, vcc, 0, v3, vcc
	s_waitcnt vmcnt(3)
	v_cmp_neq_f64_e32 vcc, 0, v[8:9]
	v_cndmask_b32_e32 v2, v2, v39, vcc
	v_cndmask_b32_e32 v3, v3, v40, vcc
	v_add_co_u32_e32 v8, vcc, 1, v2
	v_addc_co_u32_e32 v9, vcc, 0, v3, vcc
	s_waitcnt vmcnt(2)
	v_cmp_neq_f64_e32 vcc, 0, v[10:11]
	v_cndmask_b32_e32 v2, v2, v8, vcc
	v_cndmask_b32_e32 v3, v3, v9, vcc
	;; [unrolled: 6-line block ×4, first 2 shown]
	v_mov_b32_e32 v15, v7
	v_mov_b32_e32 v14, v6
	;; [unrolled: 1-line block ×8, first 2 shown]
.LBB30_17:                              ;   in Loop: Header=BB30_4 Depth=1
	v_mov_b32_e32 v0, v8
	v_mov_b32_e32 v1, v9
	;; [unrolled: 1-line block ×8, first 2 shown]
	s_or_b64 exec, exec, s[10:11]
	s_and_saveexec_b64 s[10:11], s[0:1]
	s_cbranch_execz .LBB30_7
.LBB30_18:                              ;   in Loop: Header=BB30_4 Depth=1
	s_and_b64 vcc, exec, s[8:9]
	s_mov_b64 s[12:13], -1
                                        ; implicit-def: $vgpr8_vgpr9_vgpr10_vgpr11_vgpr12_vgpr13_vgpr14_vgpr15
	s_cbranch_vccnz .LBB30_20
; %bb.19:                               ;   in Loop: Header=BB30_4 Depth=1
	v_mov_b32_e32 v8, s21
	v_add_co_u32_e32 v12, vcc, s20, v32
	v_addc_co_u32_e32 v13, vcc, v8, v33, vcc
	global_load_dwordx4 v[8:11], v[12:13], off
	s_nop 0
	global_load_dwordx4 v[12:15], v[12:13], off offset:16
	v_add_co_u32_e32 v39, vcc, 1, v4
	v_addc_co_u32_e32 v40, vcc, 0, v5, vcc
	s_mov_b64 s[12:13], 0
	s_waitcnt vmcnt(1)
	v_cmp_neq_f64_e32 vcc, 0, v[8:9]
	v_cndmask_b32_e32 v9, v4, v39, vcc
	v_cndmask_b32_e32 v8, v5, v40, vcc
	v_add_co_u32_e32 v39, vcc, 1, v9
	v_addc_co_u32_e32 v40, vcc, 0, v8, vcc
	v_cmp_neq_f64_e32 vcc, 0, v[10:11]
	v_cndmask_b32_e32 v9, v9, v39, vcc
	v_cndmask_b32_e32 v8, v8, v40, vcc
	v_add_co_u32_e32 v10, vcc, 1, v9
	v_addc_co_u32_e32 v11, vcc, 0, v8, vcc
	s_waitcnt vmcnt(0)
	v_cmp_neq_f64_e32 vcc, 0, v[12:13]
	v_cndmask_b32_e32 v39, v9, v10, vcc
	v_cndmask_b32_e32 v12, v8, v11, vcc
	v_add_co_u32_e32 v40, vcc, 1, v39
	v_addc_co_u32_e32 v13, vcc, 0, v12, vcc
	v_cmp_neq_f64_e32 vcc, 0, v[14:15]
	v_mov_b32_e32 v8, v0
	v_mov_b32_e32 v9, v1
	;; [unrolled: 1-line block ×6, first 2 shown]
	v_cndmask_b32_e32 v13, v12, v13, vcc
	v_cndmask_b32_e32 v12, v39, v40, vcc
.LBB30_20:                              ;   in Loop: Header=BB30_4 Depth=1
	s_andn2_b64 vcc, exec, s[12:13]
	s_cbranch_vccnz .LBB30_22
; %bb.21:                               ;   in Loop: Header=BB30_4 Depth=1
	v_mov_b32_e32 v9, s21
	v_add_co_u32_e32 v8, vcc, s20, v25
	v_addc_co_u32_e32 v9, vcc, v9, v38, vcc
	global_load_dwordx2 v[8:9], v[8:9], off offset:1024
	v_mov_b32_e32 v11, s21
	v_add_co_u32_e32 v10, vcc, s20, v24
	v_addc_co_u32_e32 v11, vcc, v11, v21, vcc
	global_load_dwordx2 v[10:11], v[10:11], off offset:1024
	;; [unrolled: 4-line block ×4, first 2 shown]
	v_add_co_u32_e32 v39, vcc, 1, v4
	v_addc_co_u32_e32 v40, vcc, 0, v5, vcc
	s_waitcnt vmcnt(3)
	v_cmp_neq_f64_e32 vcc, 0, v[8:9]
	v_cndmask_b32_e32 v4, v4, v39, vcc
	v_cndmask_b32_e32 v5, v5, v40, vcc
	v_add_co_u32_e32 v8, vcc, 1, v4
	v_addc_co_u32_e32 v9, vcc, 0, v5, vcc
	s_waitcnt vmcnt(2)
	v_cmp_neq_f64_e32 vcc, 0, v[10:11]
	v_cndmask_b32_e32 v4, v4, v8, vcc
	v_cndmask_b32_e32 v5, v5, v9, vcc
	;; [unrolled: 6-line block ×4, first 2 shown]
	v_mov_b32_e32 v15, v7
	v_mov_b32_e32 v14, v6
	;; [unrolled: 1-line block ×8, first 2 shown]
.LBB30_22:                              ;   in Loop: Header=BB30_4 Depth=1
	v_mov_b32_e32 v0, v8
	v_mov_b32_e32 v1, v9
	;; [unrolled: 1-line block ×8, first 2 shown]
	s_or_b64 exec, exec, s[10:11]
	s_and_saveexec_b64 s[10:11], s[2:3]
	s_cbranch_execz .LBB30_3
.LBB30_23:                              ;   in Loop: Header=BB30_4 Depth=1
	s_and_b64 vcc, exec, s[8:9]
	s_mov_b64 s[8:9], -1
                                        ; implicit-def: $vgpr8_vgpr9_vgpr10_vgpr11_vgpr12_vgpr13_vgpr14_vgpr15
	s_cbranch_vccnz .LBB30_25
; %bb.24:                               ;   in Loop: Header=BB30_4 Depth=1
	v_mov_b32_e32 v8, s21
	v_add_co_u32_e32 v12, vcc, s20, v34
	v_addc_co_u32_e32 v13, vcc, v8, v35, vcc
	global_load_dwordx4 v[8:11], v[12:13], off
	s_nop 0
	global_load_dwordx4 v[12:15], v[12:13], off offset:16
	v_add_co_u32_e32 v39, vcc, 1, v6
	v_addc_co_u32_e32 v40, vcc, 0, v7, vcc
	s_mov_b64 s[8:9], 0
	s_waitcnt vmcnt(1)
	v_cmp_neq_f64_e32 vcc, 0, v[8:9]
	v_cndmask_b32_e32 v9, v6, v39, vcc
	v_cndmask_b32_e32 v8, v7, v40, vcc
	v_add_co_u32_e32 v39, vcc, 1, v9
	v_addc_co_u32_e32 v40, vcc, 0, v8, vcc
	v_cmp_neq_f64_e32 vcc, 0, v[10:11]
	v_cndmask_b32_e32 v9, v9, v39, vcc
	v_cndmask_b32_e32 v8, v8, v40, vcc
	v_add_co_u32_e32 v10, vcc, 1, v9
	v_addc_co_u32_e32 v11, vcc, 0, v8, vcc
	s_waitcnt vmcnt(0)
	v_cmp_neq_f64_e32 vcc, 0, v[12:13]
	v_mov_b32_e32 v12, v4
	v_mov_b32_e32 v13, v5
	v_cndmask_b32_e32 v40, v9, v10, vcc
	v_cndmask_b32_e32 v39, v8, v11, vcc
	v_add_co_u32_e32 v41, vcc, 1, v40
	v_addc_co_u32_e32 v42, vcc, 0, v39, vcc
	v_cmp_neq_f64_e32 vcc, 0, v[14:15]
	v_mov_b32_e32 v8, v0
	v_mov_b32_e32 v9, v1
	;; [unrolled: 1-line block ×4, first 2 shown]
	v_cndmask_b32_e32 v15, v39, v42, vcc
	v_cndmask_b32_e32 v14, v40, v41, vcc
.LBB30_25:                              ;   in Loop: Header=BB30_4 Depth=1
	s_andn2_b64 vcc, exec, s[8:9]
	s_cbranch_vccnz .LBB30_2
; %bb.26:                               ;   in Loop: Header=BB30_4 Depth=1
	v_mov_b32_e32 v9, s21
	v_add_co_u32_e32 v8, vcc, s20, v25
	v_addc_co_u32_e32 v9, vcc, v9, v38, vcc
	global_load_dwordx2 v[8:9], v[8:9], off offset:1536
	v_mov_b32_e32 v11, s21
	v_add_co_u32_e32 v10, vcc, s20, v24
	v_addc_co_u32_e32 v11, vcc, v11, v21, vcc
	global_load_dwordx2 v[10:11], v[10:11], off offset:1536
	;; [unrolled: 4-line block ×4, first 2 shown]
	v_add_co_u32_e32 v39, vcc, 1, v6
	v_addc_co_u32_e32 v40, vcc, 0, v7, vcc
	s_waitcnt vmcnt(3)
	v_cmp_neq_f64_e32 vcc, 0, v[8:9]
	v_cndmask_b32_e32 v6, v6, v39, vcc
	v_cndmask_b32_e32 v7, v7, v40, vcc
	v_add_co_u32_e32 v8, vcc, 1, v6
	v_addc_co_u32_e32 v9, vcc, 0, v7, vcc
	s_waitcnt vmcnt(2)
	v_cmp_neq_f64_e32 vcc, 0, v[10:11]
	v_cndmask_b32_e32 v6, v6, v8, vcc
	v_cndmask_b32_e32 v7, v7, v9, vcc
	;; [unrolled: 6-line block ×4, first 2 shown]
	v_mov_b32_e32 v15, v7
	v_mov_b32_e32 v14, v6
	;; [unrolled: 1-line block ×8, first 2 shown]
	s_branch .LBB30_2
.LBB30_27:
	s_or_b64 exec, exec, s[38:39]
.LBB30_28:
	s_or_b64 exec, exec, s[30:31]
	v_cmp_lt_i64_e64 s[0:1], s[26:27], 1
	s_and_b64 vcc, exec, s[0:1]
	s_cbranch_vccnz .LBB30_134
; %bb.29:
	v_lshlrev_b64 v[8:9], 3, v[16:17]
	v_mov_b32_e32 v10, s21
	v_add_co_u32_e32 v30, vcc, s20, v8
	v_addc_co_u32_e32 v31, vcc, v10, v9, vcc
	s_cmp_lg_u32 s42, 1
	v_cmp_gt_i64_e32 vcc, s[16:17], v[18:19]
	v_lshlrev_b64 v[22:23], 3, v[18:19]
	s_cselect_b64 s[2:3], -1, 0
	s_and_saveexec_b64 s[4:5], vcc
	s_cbranch_execz .LBB30_55
; %bb.30:
	v_mad_u64_u32 v[8:9], s[0:1], v18, s22, 0
	v_cmp_gt_i64_e32 vcc, s[18:19], v[16:17]
	v_mad_u64_u32 v[9:10], s[0:1], v18, s23, v[9:10]
	v_mov_b32_e32 v10, s21
	v_lshlrev_b64 v[8:9], 3, v[8:9]
	v_add_co_u32_e64 v24, s[0:1], v30, v8
	v_addc_co_u32_e64 v25, s[0:1], v31, v9, s[0:1]
	v_add_co_u32_e64 v21, s[0:1], s20, v22
	v_addc_co_u32_e64 v32, s[0:1], v10, v23, s[0:1]
	s_and_saveexec_b64 s[0:1], vcc
	s_cbranch_execz .LBB30_36
; %bb.31:
	s_and_b64 vcc, exec, s[2:3]
	s_cbranch_vccz .LBB30_33
; %bb.32:
	global_load_dwordx2 v[26:27], v[24:25], off
	v_mov_b32_e32 v15, v7
	v_mov_b32_e32 v8, v0
	;; [unrolled: 1-line block ×8, first 2 shown]
	s_waitcnt vmcnt(0)
	v_cmp_neq_f64_e32 vcc, 0, v[26:27]
	v_cndmask_b32_e64 v8, 0, 1, vcc
	v_add_co_u32_e32 v8, vcc, v0, v8
	v_addc_co_u32_e32 v9, vcc, 0, v1, vcc
	s_cbranch_execz .LBB30_34
	s_branch .LBB30_35
.LBB30_33:
                                        ; implicit-def: $vgpr8_vgpr9_vgpr10_vgpr11_vgpr12_vgpr13_vgpr14_vgpr15
.LBB30_34:
	v_mul_lo_u32 v10, v17, s22
	v_mul_lo_u32 v11, v16, s23
	v_mad_u64_u32 v[8:9], s[6:7], v16, s22, 0
	v_add3_u32 v9, v9, v11, v10
	v_lshlrev_b64 v[8:9], 3, v[8:9]
	v_add_co_u32_e32 v8, vcc, v21, v8
	v_addc_co_u32_e32 v9, vcc, v32, v9, vcc
	global_load_dwordx2 v[8:9], v[8:9], off
	s_waitcnt vmcnt(0)
	v_cmp_neq_f64_e32 vcc, 0, v[8:9]
	v_cndmask_b32_e64 v8, 0, 1, vcc
	v_add_co_u32_e32 v0, vcc, v0, v8
	v_addc_co_u32_e32 v1, vcc, 0, v1, vcc
	v_mov_b32_e32 v15, v7
	v_mov_b32_e32 v14, v6
	v_mov_b32_e32 v13, v5
	v_mov_b32_e32 v12, v4
	v_mov_b32_e32 v11, v3
	v_mov_b32_e32 v10, v2
	v_mov_b32_e32 v9, v1
	v_mov_b32_e32 v8, v0
.LBB30_35:
	v_mov_b32_e32 v0, v8
	v_mov_b32_e32 v1, v9
	;; [unrolled: 1-line block ×8, first 2 shown]
.LBB30_36:
	s_or_b64 exec, exec, s[0:1]
	v_or_b32_e32 v26, 1, v16
	v_mov_b32_e32 v27, v17
	v_cmp_gt_i64_e32 vcc, s[18:19], v[26:27]
	s_and_saveexec_b64 s[0:1], vcc
	s_cbranch_execz .LBB30_42
; %bb.37:
	s_andn2_b64 vcc, exec, s[2:3]
	s_cbranch_vccnz .LBB30_39
; %bb.38:
	global_load_dwordx2 v[33:34], v[24:25], off offset:8
	v_mov_b32_e32 v15, v7
	v_mov_b32_e32 v8, v0
	v_mov_b32_e32 v9, v1
	v_mov_b32_e32 v14, v6
	v_mov_b32_e32 v13, v5
	v_mov_b32_e32 v12, v4
	v_mov_b32_e32 v11, v3
	v_mov_b32_e32 v10, v2
	s_waitcnt vmcnt(0)
	v_cmp_neq_f64_e32 vcc, 0, v[33:34]
	v_cndmask_b32_e64 v8, 0, 1, vcc
	v_add_co_u32_e32 v8, vcc, v0, v8
	v_addc_co_u32_e32 v9, vcc, 0, v1, vcc
	s_cbranch_execz .LBB30_40
	s_branch .LBB30_41
.LBB30_39:
                                        ; implicit-def: $vgpr8_vgpr9_vgpr10_vgpr11_vgpr12_vgpr13_vgpr14_vgpr15
.LBB30_40:
	v_mul_lo_u32 v10, v27, s22
	v_mul_lo_u32 v11, v26, s23
	v_mad_u64_u32 v[8:9], s[6:7], v26, s22, 0
	v_add3_u32 v9, v9, v11, v10
	v_lshlrev_b64 v[8:9], 3, v[8:9]
	v_add_co_u32_e32 v8, vcc, v21, v8
	v_addc_co_u32_e32 v9, vcc, v32, v9, vcc
	global_load_dwordx2 v[8:9], v[8:9], off
	s_waitcnt vmcnt(0)
	v_cmp_neq_f64_e32 vcc, 0, v[8:9]
	v_cndmask_b32_e64 v8, 0, 1, vcc
	v_add_co_u32_e32 v0, vcc, v0, v8
	v_addc_co_u32_e32 v1, vcc, 0, v1, vcc
	v_mov_b32_e32 v15, v7
	v_mov_b32_e32 v14, v6
	v_mov_b32_e32 v13, v5
	v_mov_b32_e32 v12, v4
	v_mov_b32_e32 v11, v3
	v_mov_b32_e32 v10, v2
	v_mov_b32_e32 v9, v1
	v_mov_b32_e32 v8, v0
.LBB30_41:
	v_mov_b32_e32 v0, v8
	v_mov_b32_e32 v1, v9
	v_mov_b32_e32 v2, v10
	v_mov_b32_e32 v3, v11
	v_mov_b32_e32 v4, v12
	v_mov_b32_e32 v5, v13
	v_mov_b32_e32 v6, v14
	v_mov_b32_e32 v7, v15
.LBB30_42:
	s_or_b64 exec, exec, s[0:1]
	v_or_b32_e32 v26, 2, v16
	v_mov_b32_e32 v27, v17
	v_cmp_gt_i64_e32 vcc, s[18:19], v[26:27]
	s_and_saveexec_b64 s[0:1], vcc
	s_cbranch_execz .LBB30_48
; %bb.43:
	s_andn2_b64 vcc, exec, s[2:3]
	s_cbranch_vccnz .LBB30_45
; %bb.44:
	global_load_dwordx2 v[33:34], v[24:25], off offset:16
	v_mov_b32_e32 v15, v7
	v_mov_b32_e32 v8, v0
	v_mov_b32_e32 v9, v1
	v_mov_b32_e32 v14, v6
	v_mov_b32_e32 v13, v5
	v_mov_b32_e32 v12, v4
	v_mov_b32_e32 v11, v3
	v_mov_b32_e32 v10, v2
	s_waitcnt vmcnt(0)
	v_cmp_neq_f64_e32 vcc, 0, v[33:34]
	v_cndmask_b32_e64 v8, 0, 1, vcc
	v_add_co_u32_e32 v8, vcc, v0, v8
	v_addc_co_u32_e32 v9, vcc, 0, v1, vcc
	s_cbranch_execz .LBB30_46
	s_branch .LBB30_47
.LBB30_45:
                                        ; implicit-def: $vgpr8_vgpr9_vgpr10_vgpr11_vgpr12_vgpr13_vgpr14_vgpr15
.LBB30_46:
	v_mul_lo_u32 v10, v27, s22
	v_mul_lo_u32 v11, v26, s23
	v_mad_u64_u32 v[8:9], s[6:7], v26, s22, 0
	v_add3_u32 v9, v9, v11, v10
	v_lshlrev_b64 v[8:9], 3, v[8:9]
	v_add_co_u32_e32 v8, vcc, v21, v8
	v_addc_co_u32_e32 v9, vcc, v32, v9, vcc
	global_load_dwordx2 v[8:9], v[8:9], off
	s_waitcnt vmcnt(0)
	v_cmp_neq_f64_e32 vcc, 0, v[8:9]
	v_cndmask_b32_e64 v8, 0, 1, vcc
	v_add_co_u32_e32 v0, vcc, v0, v8
	v_addc_co_u32_e32 v1, vcc, 0, v1, vcc
	v_mov_b32_e32 v15, v7
	v_mov_b32_e32 v14, v6
	v_mov_b32_e32 v13, v5
	v_mov_b32_e32 v12, v4
	v_mov_b32_e32 v11, v3
	v_mov_b32_e32 v10, v2
	v_mov_b32_e32 v9, v1
	v_mov_b32_e32 v8, v0
.LBB30_47:
	v_mov_b32_e32 v0, v8
	v_mov_b32_e32 v1, v9
	v_mov_b32_e32 v2, v10
	v_mov_b32_e32 v3, v11
	v_mov_b32_e32 v4, v12
	v_mov_b32_e32 v5, v13
	v_mov_b32_e32 v6, v14
	v_mov_b32_e32 v7, v15
.LBB30_48:
	;; [unrolled: 60-line block ×3, first 2 shown]
	s_or_b64 exec, exec, s[0:1]
.LBB30_55:
	s_or_b64 exec, exec, s[4:5]
	v_mov_b32_e32 v21, v19
	v_cmp_gt_i64_e32 vcc, s[16:17], v[20:21]
	s_and_saveexec_b64 s[4:5], vcc
	s_cbranch_execz .LBB30_81
; %bb.56:
	v_mad_u64_u32 v[8:9], s[0:1], v20, s22, 0
	v_cmp_gt_i64_e32 vcc, s[18:19], v[16:17]
	v_mad_u64_u32 v[9:10], s[0:1], v20, s23, v[9:10]
	v_mov_b32_e32 v10, s21
	v_lshlrev_b64 v[8:9], 3, v[8:9]
	v_add_co_u32_e64 v20, s[0:1], v30, v8
	v_addc_co_u32_e64 v21, s[0:1], v31, v9, s[0:1]
	v_add_co_u32_e64 v26, s[0:1], s20, v22
	v_addc_co_u32_e64 v27, s[0:1], v10, v23, s[0:1]
	s_and_saveexec_b64 s[0:1], vcc
	s_cbranch_execz .LBB30_62
; %bb.57:
	s_andn2_b64 vcc, exec, s[2:3]
	s_cbranch_vccnz .LBB30_59
; %bb.58:
	global_load_dwordx2 v[24:25], v[20:21], off
	v_mov_b32_e32 v15, v7
	v_mov_b32_e32 v10, v2
	;; [unrolled: 1-line block ×8, first 2 shown]
	s_waitcnt vmcnt(0)
	v_cmp_neq_f64_e32 vcc, 0, v[24:25]
	v_cndmask_b32_e64 v10, 0, 1, vcc
	v_add_co_u32_e32 v10, vcc, v2, v10
	v_addc_co_u32_e32 v11, vcc, 0, v3, vcc
	s_cbranch_execz .LBB30_60
	s_branch .LBB30_61
.LBB30_59:
                                        ; implicit-def: $vgpr8_vgpr9_vgpr10_vgpr11_vgpr12_vgpr13_vgpr14_vgpr15
.LBB30_60:
	v_mul_lo_u32 v10, v17, s22
	v_mul_lo_u32 v11, v16, s23
	v_mad_u64_u32 v[8:9], s[6:7], v16, s22, 0
	v_add3_u32 v9, v9, v11, v10
	v_lshlrev_b64 v[8:9], 3, v[8:9]
	v_add_co_u32_e32 v8, vcc, v26, v8
	v_addc_co_u32_e32 v9, vcc, v27, v9, vcc
	global_load_dwordx2 v[8:9], v[8:9], off offset:512
	s_waitcnt vmcnt(0)
	v_cmp_neq_f64_e32 vcc, 0, v[8:9]
	v_cndmask_b32_e64 v8, 0, 1, vcc
	v_add_co_u32_e32 v2, vcc, v2, v8
	v_addc_co_u32_e32 v3, vcc, 0, v3, vcc
	v_mov_b32_e32 v15, v7
	v_mov_b32_e32 v14, v6
	;; [unrolled: 1-line block ×8, first 2 shown]
.LBB30_61:
	v_mov_b32_e32 v0, v8
	v_mov_b32_e32 v1, v9
	;; [unrolled: 1-line block ×8, first 2 shown]
.LBB30_62:
	s_or_b64 exec, exec, s[0:1]
	v_or_b32_e32 v24, 1, v16
	v_mov_b32_e32 v25, v17
	v_cmp_gt_i64_e32 vcc, s[18:19], v[24:25]
	s_and_saveexec_b64 s[0:1], vcc
	s_cbranch_execz .LBB30_68
; %bb.63:
	s_andn2_b64 vcc, exec, s[2:3]
	s_cbranch_vccnz .LBB30_65
; %bb.64:
	global_load_dwordx2 v[32:33], v[20:21], off offset:8
	v_mov_b32_e32 v15, v7
	v_mov_b32_e32 v10, v2
	v_mov_b32_e32 v11, v3
	v_mov_b32_e32 v14, v6
	v_mov_b32_e32 v13, v5
	v_mov_b32_e32 v12, v4
	v_mov_b32_e32 v9, v1
	v_mov_b32_e32 v8, v0
	s_waitcnt vmcnt(0)
	v_cmp_neq_f64_e32 vcc, 0, v[32:33]
	v_cndmask_b32_e64 v10, 0, 1, vcc
	v_add_co_u32_e32 v10, vcc, v2, v10
	v_addc_co_u32_e32 v11, vcc, 0, v3, vcc
	s_cbranch_execz .LBB30_66
	s_branch .LBB30_67
.LBB30_65:
                                        ; implicit-def: $vgpr8_vgpr9_vgpr10_vgpr11_vgpr12_vgpr13_vgpr14_vgpr15
.LBB30_66:
	v_mul_lo_u32 v10, v25, s22
	v_mul_lo_u32 v11, v24, s23
	v_mad_u64_u32 v[8:9], s[6:7], v24, s22, 0
	v_add3_u32 v9, v9, v11, v10
	v_lshlrev_b64 v[8:9], 3, v[8:9]
	v_add_co_u32_e32 v8, vcc, v26, v8
	v_addc_co_u32_e32 v9, vcc, v27, v9, vcc
	global_load_dwordx2 v[8:9], v[8:9], off offset:512
	s_waitcnt vmcnt(0)
	v_cmp_neq_f64_e32 vcc, 0, v[8:9]
	v_cndmask_b32_e64 v8, 0, 1, vcc
	v_add_co_u32_e32 v2, vcc, v2, v8
	v_addc_co_u32_e32 v3, vcc, 0, v3, vcc
	v_mov_b32_e32 v15, v7
	v_mov_b32_e32 v14, v6
	v_mov_b32_e32 v13, v5
	v_mov_b32_e32 v12, v4
	v_mov_b32_e32 v11, v3
	v_mov_b32_e32 v10, v2
	v_mov_b32_e32 v9, v1
	v_mov_b32_e32 v8, v0
.LBB30_67:
	v_mov_b32_e32 v0, v8
	v_mov_b32_e32 v1, v9
	v_mov_b32_e32 v2, v10
	v_mov_b32_e32 v3, v11
	v_mov_b32_e32 v4, v12
	v_mov_b32_e32 v5, v13
	v_mov_b32_e32 v6, v14
	v_mov_b32_e32 v7, v15
.LBB30_68:
	s_or_b64 exec, exec, s[0:1]
	v_or_b32_e32 v24, 2, v16
	v_mov_b32_e32 v25, v17
	v_cmp_gt_i64_e32 vcc, s[18:19], v[24:25]
	s_and_saveexec_b64 s[0:1], vcc
	s_cbranch_execz .LBB30_74
; %bb.69:
	s_andn2_b64 vcc, exec, s[2:3]
	s_cbranch_vccnz .LBB30_71
; %bb.70:
	global_load_dwordx2 v[32:33], v[20:21], off offset:16
	v_mov_b32_e32 v15, v7
	v_mov_b32_e32 v10, v2
	v_mov_b32_e32 v11, v3
	v_mov_b32_e32 v14, v6
	v_mov_b32_e32 v13, v5
	v_mov_b32_e32 v12, v4
	v_mov_b32_e32 v9, v1
	v_mov_b32_e32 v8, v0
	s_waitcnt vmcnt(0)
	v_cmp_neq_f64_e32 vcc, 0, v[32:33]
	v_cndmask_b32_e64 v10, 0, 1, vcc
	v_add_co_u32_e32 v10, vcc, v2, v10
	v_addc_co_u32_e32 v11, vcc, 0, v3, vcc
	s_cbranch_execz .LBB30_72
	s_branch .LBB30_73
.LBB30_71:
                                        ; implicit-def: $vgpr8_vgpr9_vgpr10_vgpr11_vgpr12_vgpr13_vgpr14_vgpr15
.LBB30_72:
	v_mul_lo_u32 v10, v25, s22
	v_mul_lo_u32 v11, v24, s23
	v_mad_u64_u32 v[8:9], s[6:7], v24, s22, 0
	v_add3_u32 v9, v9, v11, v10
	v_lshlrev_b64 v[8:9], 3, v[8:9]
	v_add_co_u32_e32 v8, vcc, v26, v8
	v_addc_co_u32_e32 v9, vcc, v27, v9, vcc
	global_load_dwordx2 v[8:9], v[8:9], off offset:512
	s_waitcnt vmcnt(0)
	v_cmp_neq_f64_e32 vcc, 0, v[8:9]
	v_cndmask_b32_e64 v8, 0, 1, vcc
	v_add_co_u32_e32 v2, vcc, v2, v8
	v_addc_co_u32_e32 v3, vcc, 0, v3, vcc
	v_mov_b32_e32 v15, v7
	v_mov_b32_e32 v14, v6
	v_mov_b32_e32 v13, v5
	v_mov_b32_e32 v12, v4
	v_mov_b32_e32 v11, v3
	v_mov_b32_e32 v10, v2
	v_mov_b32_e32 v9, v1
	v_mov_b32_e32 v8, v0
.LBB30_73:
	v_mov_b32_e32 v0, v8
	v_mov_b32_e32 v1, v9
	v_mov_b32_e32 v2, v10
	v_mov_b32_e32 v3, v11
	v_mov_b32_e32 v4, v12
	v_mov_b32_e32 v5, v13
	v_mov_b32_e32 v6, v14
	v_mov_b32_e32 v7, v15
.LBB30_74:
	;; [unrolled: 60-line block ×3, first 2 shown]
	s_or_b64 exec, exec, s[0:1]
.LBB30_81:
	s_or_b64 exec, exec, s[4:5]
	v_or_b32_e32 v8, 0x80, v18
	v_mov_b32_e32 v9, v19
	v_cmp_gt_i64_e32 vcc, s[16:17], v[8:9]
	s_and_saveexec_b64 s[4:5], vcc
	s_cbranch_execz .LBB30_107
; %bb.82:
	v_mad_u64_u32 v[9:10], s[0:1], v8, s22, 0
	v_cmp_gt_i64_e32 vcc, s[18:19], v[16:17]
	v_mad_u64_u32 v[10:11], s[0:1], v8, s23, v[10:11]
	v_mov_b32_e32 v11, s21
	v_lshlrev_b64 v[8:9], 3, v[9:10]
	v_add_co_u32_e64 v20, s[0:1], v30, v8
	v_addc_co_u32_e64 v21, s[0:1], v31, v9, s[0:1]
	v_add_co_u32_e64 v26, s[0:1], s20, v22
	v_addc_co_u32_e64 v27, s[0:1], v11, v23, s[0:1]
	s_and_saveexec_b64 s[0:1], vcc
	s_cbranch_execz .LBB30_88
; %bb.83:
	s_andn2_b64 vcc, exec, s[2:3]
	s_cbranch_vccnz .LBB30_85
; %bb.84:
	global_load_dwordx2 v[24:25], v[20:21], off
	v_mov_b32_e32 v15, v7
	v_mov_b32_e32 v12, v4
	;; [unrolled: 1-line block ×8, first 2 shown]
	s_waitcnt vmcnt(0)
	v_cmp_neq_f64_e32 vcc, 0, v[24:25]
	v_cndmask_b32_e64 v12, 0, 1, vcc
	v_add_co_u32_e32 v12, vcc, v4, v12
	v_addc_co_u32_e32 v13, vcc, 0, v5, vcc
	s_cbranch_execz .LBB30_86
	s_branch .LBB30_87
.LBB30_85:
                                        ; implicit-def: $vgpr8_vgpr9_vgpr10_vgpr11_vgpr12_vgpr13_vgpr14_vgpr15
.LBB30_86:
	v_mul_lo_u32 v10, v17, s22
	v_mul_lo_u32 v11, v16, s23
	v_mad_u64_u32 v[8:9], s[6:7], v16, s22, 0
	v_add3_u32 v9, v9, v11, v10
	v_lshlrev_b64 v[8:9], 3, v[8:9]
	v_add_co_u32_e32 v8, vcc, v26, v8
	v_addc_co_u32_e32 v9, vcc, v27, v9, vcc
	global_load_dwordx2 v[8:9], v[8:9], off offset:1024
	s_waitcnt vmcnt(0)
	v_cmp_neq_f64_e32 vcc, 0, v[8:9]
	v_cndmask_b32_e64 v8, 0, 1, vcc
	v_add_co_u32_e32 v4, vcc, v4, v8
	v_addc_co_u32_e32 v5, vcc, 0, v5, vcc
	v_mov_b32_e32 v15, v7
	v_mov_b32_e32 v14, v6
	;; [unrolled: 1-line block ×8, first 2 shown]
.LBB30_87:
	v_mov_b32_e32 v0, v8
	v_mov_b32_e32 v1, v9
	v_mov_b32_e32 v2, v10
	v_mov_b32_e32 v3, v11
	v_mov_b32_e32 v4, v12
	v_mov_b32_e32 v5, v13
	v_mov_b32_e32 v6, v14
	v_mov_b32_e32 v7, v15
.LBB30_88:
	s_or_b64 exec, exec, s[0:1]
	v_or_b32_e32 v24, 1, v16
	v_mov_b32_e32 v25, v17
	v_cmp_gt_i64_e32 vcc, s[18:19], v[24:25]
	s_and_saveexec_b64 s[0:1], vcc
	s_cbranch_execz .LBB30_94
; %bb.89:
	s_andn2_b64 vcc, exec, s[2:3]
	s_cbranch_vccnz .LBB30_91
; %bb.90:
	global_load_dwordx2 v[32:33], v[20:21], off offset:8
	v_mov_b32_e32 v15, v7
	v_mov_b32_e32 v12, v4
	v_mov_b32_e32 v13, v5
	v_mov_b32_e32 v14, v6
	v_mov_b32_e32 v11, v3
	v_mov_b32_e32 v10, v2
	v_mov_b32_e32 v9, v1
	v_mov_b32_e32 v8, v0
	s_waitcnt vmcnt(0)
	v_cmp_neq_f64_e32 vcc, 0, v[32:33]
	v_cndmask_b32_e64 v12, 0, 1, vcc
	v_add_co_u32_e32 v12, vcc, v4, v12
	v_addc_co_u32_e32 v13, vcc, 0, v5, vcc
	s_cbranch_execz .LBB30_92
	s_branch .LBB30_93
.LBB30_91:
                                        ; implicit-def: $vgpr8_vgpr9_vgpr10_vgpr11_vgpr12_vgpr13_vgpr14_vgpr15
.LBB30_92:
	v_mul_lo_u32 v10, v25, s22
	v_mul_lo_u32 v11, v24, s23
	v_mad_u64_u32 v[8:9], s[6:7], v24, s22, 0
	v_add3_u32 v9, v9, v11, v10
	v_lshlrev_b64 v[8:9], 3, v[8:9]
	v_add_co_u32_e32 v8, vcc, v26, v8
	v_addc_co_u32_e32 v9, vcc, v27, v9, vcc
	global_load_dwordx2 v[8:9], v[8:9], off offset:1024
	s_waitcnt vmcnt(0)
	v_cmp_neq_f64_e32 vcc, 0, v[8:9]
	v_cndmask_b32_e64 v8, 0, 1, vcc
	v_add_co_u32_e32 v4, vcc, v4, v8
	v_addc_co_u32_e32 v5, vcc, 0, v5, vcc
	v_mov_b32_e32 v15, v7
	v_mov_b32_e32 v14, v6
	v_mov_b32_e32 v13, v5
	v_mov_b32_e32 v12, v4
	v_mov_b32_e32 v11, v3
	v_mov_b32_e32 v10, v2
	v_mov_b32_e32 v9, v1
	v_mov_b32_e32 v8, v0
.LBB30_93:
	v_mov_b32_e32 v0, v8
	v_mov_b32_e32 v1, v9
	v_mov_b32_e32 v2, v10
	v_mov_b32_e32 v3, v11
	v_mov_b32_e32 v4, v12
	v_mov_b32_e32 v5, v13
	v_mov_b32_e32 v6, v14
	v_mov_b32_e32 v7, v15
.LBB30_94:
	s_or_b64 exec, exec, s[0:1]
	v_or_b32_e32 v24, 2, v16
	v_mov_b32_e32 v25, v17
	v_cmp_gt_i64_e32 vcc, s[18:19], v[24:25]
	s_and_saveexec_b64 s[0:1], vcc
	s_cbranch_execz .LBB30_100
; %bb.95:
	s_andn2_b64 vcc, exec, s[2:3]
	s_cbranch_vccnz .LBB30_97
; %bb.96:
	global_load_dwordx2 v[32:33], v[20:21], off offset:16
	v_mov_b32_e32 v15, v7
	v_mov_b32_e32 v12, v4
	v_mov_b32_e32 v13, v5
	v_mov_b32_e32 v14, v6
	v_mov_b32_e32 v11, v3
	v_mov_b32_e32 v10, v2
	v_mov_b32_e32 v9, v1
	v_mov_b32_e32 v8, v0
	s_waitcnt vmcnt(0)
	v_cmp_neq_f64_e32 vcc, 0, v[32:33]
	v_cndmask_b32_e64 v12, 0, 1, vcc
	v_add_co_u32_e32 v12, vcc, v4, v12
	v_addc_co_u32_e32 v13, vcc, 0, v5, vcc
	s_cbranch_execz .LBB30_98
	s_branch .LBB30_99
.LBB30_97:
                                        ; implicit-def: $vgpr8_vgpr9_vgpr10_vgpr11_vgpr12_vgpr13_vgpr14_vgpr15
.LBB30_98:
	v_mul_lo_u32 v10, v25, s22
	v_mul_lo_u32 v11, v24, s23
	v_mad_u64_u32 v[8:9], s[6:7], v24, s22, 0
	v_add3_u32 v9, v9, v11, v10
	v_lshlrev_b64 v[8:9], 3, v[8:9]
	v_add_co_u32_e32 v8, vcc, v26, v8
	v_addc_co_u32_e32 v9, vcc, v27, v9, vcc
	global_load_dwordx2 v[8:9], v[8:9], off offset:1024
	s_waitcnt vmcnt(0)
	v_cmp_neq_f64_e32 vcc, 0, v[8:9]
	v_cndmask_b32_e64 v8, 0, 1, vcc
	v_add_co_u32_e32 v4, vcc, v4, v8
	v_addc_co_u32_e32 v5, vcc, 0, v5, vcc
	v_mov_b32_e32 v15, v7
	v_mov_b32_e32 v14, v6
	v_mov_b32_e32 v13, v5
	v_mov_b32_e32 v12, v4
	v_mov_b32_e32 v11, v3
	v_mov_b32_e32 v10, v2
	v_mov_b32_e32 v9, v1
	v_mov_b32_e32 v8, v0
.LBB30_99:
	v_mov_b32_e32 v0, v8
	v_mov_b32_e32 v1, v9
	v_mov_b32_e32 v2, v10
	v_mov_b32_e32 v3, v11
	v_mov_b32_e32 v4, v12
	v_mov_b32_e32 v5, v13
	v_mov_b32_e32 v6, v14
	v_mov_b32_e32 v7, v15
.LBB30_100:
	;; [unrolled: 60-line block ×3, first 2 shown]
	s_or_b64 exec, exec, s[0:1]
.LBB30_107:
	s_or_b64 exec, exec, s[4:5]
	v_or_b32_e32 v18, 0xc0, v18
	v_cmp_gt_i64_e32 vcc, s[16:17], v[18:19]
	s_and_saveexec_b64 s[4:5], vcc
	s_cbranch_execz .LBB30_133
; %bb.108:
	v_mad_u64_u32 v[8:9], s[0:1], v18, s22, 0
	v_mad_u64_u32 v[9:10], s[0:1], v18, s23, v[9:10]
	v_mov_b32_e32 v10, s21
	v_lshlrev_b64 v[8:9], 3, v[8:9]
	v_add_co_u32_e32 v18, vcc, v30, v8
	v_addc_co_u32_e32 v19, vcc, v31, v9, vcc
	v_add_co_u32_e32 v22, vcc, s20, v22
	v_addc_co_u32_e32 v23, vcc, v10, v23, vcc
	v_cmp_gt_i64_e32 vcc, s[18:19], v[16:17]
	v_cndmask_b32_e64 v8, 0, 1, s[2:3]
	v_cmp_ne_u32_e64 s[0:1], 1, v8
	s_and_saveexec_b64 s[2:3], vcc
	s_cbranch_execz .LBB30_114
; %bb.109:
	s_and_b64 vcc, exec, s[0:1]
	s_cbranch_vccnz .LBB30_111
; %bb.110:
	global_load_dwordx2 v[20:21], v[18:19], off
	v_mov_b32_e32 v15, v7
	v_mov_b32_e32 v14, v6
	;; [unrolled: 1-line block ×8, first 2 shown]
	s_waitcnt vmcnt(0)
	v_cmp_neq_f64_e32 vcc, 0, v[20:21]
	v_cndmask_b32_e64 v14, 0, 1, vcc
	v_add_co_u32_e32 v14, vcc, v6, v14
	v_addc_co_u32_e32 v15, vcc, 0, v7, vcc
	s_cbranch_execz .LBB30_112
	s_branch .LBB30_113
.LBB30_111:
                                        ; implicit-def: $vgpr8_vgpr9_vgpr10_vgpr11_vgpr12_vgpr13_vgpr14_vgpr15
.LBB30_112:
	v_mul_lo_u32 v10, v17, s22
	v_mul_lo_u32 v11, v16, s23
	v_mad_u64_u32 v[8:9], s[6:7], v16, s22, 0
	v_add3_u32 v9, v9, v11, v10
	v_lshlrev_b64 v[8:9], 3, v[8:9]
	v_add_co_u32_e32 v8, vcc, v22, v8
	v_addc_co_u32_e32 v9, vcc, v23, v9, vcc
	global_load_dwordx2 v[8:9], v[8:9], off offset:1536
	s_waitcnt vmcnt(0)
	v_cmp_neq_f64_e32 vcc, 0, v[8:9]
	v_cndmask_b32_e64 v8, 0, 1, vcc
	v_add_co_u32_e32 v6, vcc, v6, v8
	v_addc_co_u32_e32 v7, vcc, 0, v7, vcc
	v_mov_b32_e32 v15, v7
	v_mov_b32_e32 v14, v6
	;; [unrolled: 1-line block ×8, first 2 shown]
.LBB30_113:
	v_mov_b32_e32 v0, v8
	v_mov_b32_e32 v1, v9
	;; [unrolled: 1-line block ×8, first 2 shown]
.LBB30_114:
	s_or_b64 exec, exec, s[2:3]
	v_or_b32_e32 v20, 1, v16
	v_mov_b32_e32 v21, v17
	v_cmp_gt_i64_e32 vcc, s[18:19], v[20:21]
	s_and_saveexec_b64 s[2:3], vcc
	s_cbranch_execz .LBB30_120
; %bb.115:
	s_and_b64 vcc, exec, s[0:1]
	s_cbranch_vccnz .LBB30_117
; %bb.116:
	global_load_dwordx2 v[24:25], v[18:19], off offset:8
	v_mov_b32_e32 v15, v7
	v_mov_b32_e32 v14, v6
	;; [unrolled: 1-line block ×8, first 2 shown]
	s_waitcnt vmcnt(0)
	v_cmp_neq_f64_e32 vcc, 0, v[24:25]
	v_cndmask_b32_e64 v14, 0, 1, vcc
	v_add_co_u32_e32 v14, vcc, v6, v14
	v_addc_co_u32_e32 v15, vcc, 0, v7, vcc
	s_cbranch_execz .LBB30_118
	s_branch .LBB30_119
.LBB30_117:
                                        ; implicit-def: $vgpr8_vgpr9_vgpr10_vgpr11_vgpr12_vgpr13_vgpr14_vgpr15
.LBB30_118:
	v_mul_lo_u32 v10, v21, s22
	v_mul_lo_u32 v11, v20, s23
	v_mad_u64_u32 v[8:9], s[6:7], v20, s22, 0
	v_add3_u32 v9, v9, v11, v10
	v_lshlrev_b64 v[8:9], 3, v[8:9]
	v_add_co_u32_e32 v8, vcc, v22, v8
	v_addc_co_u32_e32 v9, vcc, v23, v9, vcc
	global_load_dwordx2 v[8:9], v[8:9], off offset:1536
	s_waitcnt vmcnt(0)
	v_cmp_neq_f64_e32 vcc, 0, v[8:9]
	v_cndmask_b32_e64 v8, 0, 1, vcc
	v_add_co_u32_e32 v6, vcc, v6, v8
	v_addc_co_u32_e32 v7, vcc, 0, v7, vcc
	v_mov_b32_e32 v15, v7
	v_mov_b32_e32 v14, v6
	;; [unrolled: 1-line block ×8, first 2 shown]
.LBB30_119:
	v_mov_b32_e32 v0, v8
	v_mov_b32_e32 v1, v9
	;; [unrolled: 1-line block ×8, first 2 shown]
.LBB30_120:
	s_or_b64 exec, exec, s[2:3]
	v_or_b32_e32 v20, 2, v16
	v_mov_b32_e32 v21, v17
	v_cmp_gt_i64_e32 vcc, s[18:19], v[20:21]
	s_and_saveexec_b64 s[2:3], vcc
	s_cbranch_execz .LBB30_126
; %bb.121:
	s_and_b64 vcc, exec, s[0:1]
	s_cbranch_vccnz .LBB30_123
; %bb.122:
	global_load_dwordx2 v[24:25], v[18:19], off offset:16
	v_mov_b32_e32 v15, v7
	v_mov_b32_e32 v14, v6
	;; [unrolled: 1-line block ×8, first 2 shown]
	s_waitcnt vmcnt(0)
	v_cmp_neq_f64_e32 vcc, 0, v[24:25]
	v_cndmask_b32_e64 v14, 0, 1, vcc
	v_add_co_u32_e32 v14, vcc, v6, v14
	v_addc_co_u32_e32 v15, vcc, 0, v7, vcc
	s_cbranch_execz .LBB30_124
	s_branch .LBB30_125
.LBB30_123:
                                        ; implicit-def: $vgpr8_vgpr9_vgpr10_vgpr11_vgpr12_vgpr13_vgpr14_vgpr15
.LBB30_124:
	v_mul_lo_u32 v10, v21, s22
	v_mul_lo_u32 v11, v20, s23
	v_mad_u64_u32 v[8:9], s[6:7], v20, s22, 0
	v_add3_u32 v9, v9, v11, v10
	v_lshlrev_b64 v[8:9], 3, v[8:9]
	v_add_co_u32_e32 v8, vcc, v22, v8
	v_addc_co_u32_e32 v9, vcc, v23, v9, vcc
	global_load_dwordx2 v[8:9], v[8:9], off offset:1536
	s_waitcnt vmcnt(0)
	v_cmp_neq_f64_e32 vcc, 0, v[8:9]
	v_cndmask_b32_e64 v8, 0, 1, vcc
	v_add_co_u32_e32 v6, vcc, v6, v8
	v_addc_co_u32_e32 v7, vcc, 0, v7, vcc
	v_mov_b32_e32 v15, v7
	v_mov_b32_e32 v14, v6
	;; [unrolled: 1-line block ×8, first 2 shown]
.LBB30_125:
	v_mov_b32_e32 v0, v8
	v_mov_b32_e32 v1, v9
	;; [unrolled: 1-line block ×8, first 2 shown]
.LBB30_126:
	s_or_b64 exec, exec, s[2:3]
	v_or_b32_e32 v16, 3, v16
	v_cmp_gt_i64_e32 vcc, s[18:19], v[16:17]
	s_and_saveexec_b64 s[2:3], vcc
	s_cbranch_execz .LBB30_132
; %bb.127:
	s_and_b64 vcc, exec, s[0:1]
	s_cbranch_vccnz .LBB30_129
; %bb.128:
	global_load_dwordx2 v[18:19], v[18:19], off offset:24
	v_mov_b32_e32 v15, v7
	v_mov_b32_e32 v14, v6
	;; [unrolled: 1-line block ×8, first 2 shown]
	s_waitcnt vmcnt(0)
	v_cmp_neq_f64_e32 vcc, 0, v[18:19]
	v_cndmask_b32_e64 v14, 0, 1, vcc
	v_add_co_u32_e32 v14, vcc, v6, v14
	v_addc_co_u32_e32 v15, vcc, 0, v7, vcc
	s_cbranch_execz .LBB30_130
	s_branch .LBB30_131
.LBB30_129:
                                        ; implicit-def: $vgpr8_vgpr9_vgpr10_vgpr11_vgpr12_vgpr13_vgpr14_vgpr15
.LBB30_130:
	v_mul_lo_u32 v10, v17, s22
	v_mul_lo_u32 v11, v16, s23
	v_mad_u64_u32 v[8:9], s[0:1], v16, s22, 0
	v_add3_u32 v9, v9, v11, v10
	v_lshlrev_b64 v[8:9], 3, v[8:9]
	v_add_co_u32_e32 v8, vcc, v22, v8
	v_addc_co_u32_e32 v9, vcc, v23, v9, vcc
	global_load_dwordx2 v[8:9], v[8:9], off offset:1536
	s_waitcnt vmcnt(0)
	v_cmp_neq_f64_e32 vcc, 0, v[8:9]
	v_cndmask_b32_e64 v8, 0, 1, vcc
	v_add_co_u32_e32 v6, vcc, v6, v8
	v_addc_co_u32_e32 v7, vcc, 0, v7, vcc
	v_mov_b32_e32 v15, v7
	v_mov_b32_e32 v14, v6
	;; [unrolled: 1-line block ×8, first 2 shown]
.LBB30_131:
	v_mov_b32_e32 v0, v8
	v_mov_b32_e32 v1, v9
	;; [unrolled: 1-line block ×8, first 2 shown]
.LBB30_132:
	s_or_b64 exec, exec, s[2:3]
.LBB30_133:
	s_or_b64 exec, exec, s[4:5]
.LBB30_134:
	v_lshlrev_b32_e32 v8, 5, v28
	v_lshlrev_b32_e32 v9, 3, v29
	s_movk_i32 s0, 0xf800
	v_and_or_b32 v8, v8, s0, v9
	s_movk_i32 s0, 0x100
	v_cmp_gt_u32_e32 vcc, s0, v28
	ds_write2st64_b64 v8, v[0:1], v[2:3] offset1:1
	ds_write2st64_b64 v8, v[4:5], v[6:7] offset0:2 offset1:3
	s_waitcnt lgkmcnt(0)
	s_barrier
	s_and_saveexec_b64 s[0:1], vcc
	s_cbranch_execz .LBB30_137
; %bb.135:
	v_lshlrev_b32_e32 v10, 3, v28
	ds_read2st64_b64 v[2:5], v10 offset1:4
	ds_read2st64_b64 v[6:9], v10 offset0:8 offset1:12
	v_add_co_u32_e32 v0, vcc, s33, v28
	v_addc_co_u32_e64 v1, s[0:1], 0, 0, vcc
	s_waitcnt lgkmcnt(1)
	v_add_co_u32_e32 v2, vcc, v2, v4
	v_addc_co_u32_e32 v3, vcc, v3, v5, vcc
	s_waitcnt lgkmcnt(0)
	v_add_co_u32_e32 v6, vcc, v2, v6
	v_addc_co_u32_e32 v7, vcc, v3, v7, vcc
	ds_read2st64_b64 v[2:5], v10 offset0:16 offset1:20
	v_add_co_u32_e32 v6, vcc, v6, v8
	v_addc_co_u32_e32 v7, vcc, v7, v9, vcc
	s_waitcnt lgkmcnt(0)
	v_add_co_u32_e32 v2, vcc, v6, v2
	v_addc_co_u32_e32 v3, vcc, v7, v3, vcc
	ds_read2st64_b64 v[6:9], v10 offset0:24 offset1:28
	;; [unrolled: 6-line block ×6, first 2 shown]
	v_add_co_u32_e32 v2, vcc, v2, v4
	v_addc_co_u32_e32 v3, vcc, v3, v5, vcc
	s_waitcnt lgkmcnt(0)
	v_add_co_u32_e32 v2, vcc, v2, v6
	v_addc_co_u32_e32 v3, vcc, v3, v7, vcc
	v_add_co_u32_e32 v2, vcc, v2, v8
	v_addc_co_u32_e32 v3, vcc, v3, v9, vcc
	v_cmp_gt_i64_e32 vcc, s[16:17], v[0:1]
	ds_write_b64 v10, v[2:3]
	s_and_b64 exec, exec, vcc
	s_cbranch_execz .LBB30_137
; %bb.136:
	v_lshlrev_b64 v[0:1], 3, v[0:1]
	v_mov_b32_e32 v4, s25
	v_add_co_u32_e32 v0, vcc, s24, v0
	v_addc_co_u32_e32 v1, vcc, v4, v1, vcc
	global_store_dwordx2 v[0:1], v[2:3], off
.LBB30_137:
	s_endpgm
	.section	.rodata,"a",@progbits
	.p2align	6, 0x0
	.amdhsa_kernel _ZN9rocsparseL14nnz_kernel_rowILi64ELi16ElldEEv16rocsparse_order_T2_S2_PKT3_lPT1_
		.amdhsa_group_segment_fixed_size 32768
		.amdhsa_private_segment_fixed_size 0
		.amdhsa_kernarg_size 304
		.amdhsa_user_sgpr_count 6
		.amdhsa_user_sgpr_private_segment_buffer 1
		.amdhsa_user_sgpr_dispatch_ptr 0
		.amdhsa_user_sgpr_queue_ptr 0
		.amdhsa_user_sgpr_kernarg_segment_ptr 1
		.amdhsa_user_sgpr_dispatch_id 0
		.amdhsa_user_sgpr_flat_scratch_init 0
		.amdhsa_user_sgpr_private_segment_size 0
		.amdhsa_uses_dynamic_stack 0
		.amdhsa_system_sgpr_private_segment_wavefront_offset 0
		.amdhsa_system_sgpr_workgroup_id_x 1
		.amdhsa_system_sgpr_workgroup_id_y 0
		.amdhsa_system_sgpr_workgroup_id_z 0
		.amdhsa_system_sgpr_workgroup_info 0
		.amdhsa_system_vgpr_workitem_id 1
		.amdhsa_next_free_vgpr 47
		.amdhsa_next_free_sgpr 61
		.amdhsa_reserve_vcc 1
		.amdhsa_reserve_flat_scratch 0
		.amdhsa_float_round_mode_32 0
		.amdhsa_float_round_mode_16_64 0
		.amdhsa_float_denorm_mode_32 3
		.amdhsa_float_denorm_mode_16_64 3
		.amdhsa_dx10_clamp 1
		.amdhsa_ieee_mode 1
		.amdhsa_fp16_overflow 0
		.amdhsa_exception_fp_ieee_invalid_op 0
		.amdhsa_exception_fp_denorm_src 0
		.amdhsa_exception_fp_ieee_div_zero 0
		.amdhsa_exception_fp_ieee_overflow 0
		.amdhsa_exception_fp_ieee_underflow 0
		.amdhsa_exception_fp_ieee_inexact 0
		.amdhsa_exception_int_div_zero 0
	.end_amdhsa_kernel
	.section	.text._ZN9rocsparseL14nnz_kernel_rowILi64ELi16ElldEEv16rocsparse_order_T2_S2_PKT3_lPT1_,"axG",@progbits,_ZN9rocsparseL14nnz_kernel_rowILi64ELi16ElldEEv16rocsparse_order_T2_S2_PKT3_lPT1_,comdat
.Lfunc_end30:
	.size	_ZN9rocsparseL14nnz_kernel_rowILi64ELi16ElldEEv16rocsparse_order_T2_S2_PKT3_lPT1_, .Lfunc_end30-_ZN9rocsparseL14nnz_kernel_rowILi64ELi16ElldEEv16rocsparse_order_T2_S2_PKT3_lPT1_
                                        ; -- End function
	.set _ZN9rocsparseL14nnz_kernel_rowILi64ELi16ElldEEv16rocsparse_order_T2_S2_PKT3_lPT1_.num_vgpr, 47
	.set _ZN9rocsparseL14nnz_kernel_rowILi64ELi16ElldEEv16rocsparse_order_T2_S2_PKT3_lPT1_.num_agpr, 0
	.set _ZN9rocsparseL14nnz_kernel_rowILi64ELi16ElldEEv16rocsparse_order_T2_S2_PKT3_lPT1_.numbered_sgpr, 43
	.set _ZN9rocsparseL14nnz_kernel_rowILi64ELi16ElldEEv16rocsparse_order_T2_S2_PKT3_lPT1_.num_named_barrier, 0
	.set _ZN9rocsparseL14nnz_kernel_rowILi64ELi16ElldEEv16rocsparse_order_T2_S2_PKT3_lPT1_.private_seg_size, 0
	.set _ZN9rocsparseL14nnz_kernel_rowILi64ELi16ElldEEv16rocsparse_order_T2_S2_PKT3_lPT1_.uses_vcc, 1
	.set _ZN9rocsparseL14nnz_kernel_rowILi64ELi16ElldEEv16rocsparse_order_T2_S2_PKT3_lPT1_.uses_flat_scratch, 0
	.set _ZN9rocsparseL14nnz_kernel_rowILi64ELi16ElldEEv16rocsparse_order_T2_S2_PKT3_lPT1_.has_dyn_sized_stack, 0
	.set _ZN9rocsparseL14nnz_kernel_rowILi64ELi16ElldEEv16rocsparse_order_T2_S2_PKT3_lPT1_.has_recursion, 0
	.set _ZN9rocsparseL14nnz_kernel_rowILi64ELi16ElldEEv16rocsparse_order_T2_S2_PKT3_lPT1_.has_indirect_call, 0
	.section	.AMDGPU.csdata,"",@progbits
; Kernel info:
; codeLenInByte = 7208
; TotalNumSgprs: 47
; NumVgprs: 47
; ScratchSize: 0
; MemoryBound: 0
; FloatMode: 240
; IeeeMode: 1
; LDSByteSize: 32768 bytes/workgroup (compile time only)
; SGPRBlocks: 8
; VGPRBlocks: 11
; NumSGPRsForWavesPerEU: 65
; NumVGPRsForWavesPerEU: 47
; Occupancy: 5
; WaveLimiterHint : 0
; COMPUTE_PGM_RSRC2:SCRATCH_EN: 0
; COMPUTE_PGM_RSRC2:USER_SGPR: 6
; COMPUTE_PGM_RSRC2:TRAP_HANDLER: 0
; COMPUTE_PGM_RSRC2:TGID_X_EN: 1
; COMPUTE_PGM_RSRC2:TGID_Y_EN: 0
; COMPUTE_PGM_RSRC2:TGID_Z_EN: 0
; COMPUTE_PGM_RSRC2:TIDIG_COMP_CNT: 1
	.section	.text._ZN9rocsparseL14nnz_kernel_colILi256ElldEEv16rocsparse_order_T1_S2_PKT2_lPT0_,"axG",@progbits,_ZN9rocsparseL14nnz_kernel_colILi256ElldEEv16rocsparse_order_T1_S2_PKT2_lPT0_,comdat
	.globl	_ZN9rocsparseL14nnz_kernel_colILi256ElldEEv16rocsparse_order_T1_S2_PKT2_lPT0_ ; -- Begin function _ZN9rocsparseL14nnz_kernel_colILi256ElldEEv16rocsparse_order_T1_S2_PKT2_lPT0_
	.p2align	8
	.type	_ZN9rocsparseL14nnz_kernel_colILi256ElldEEv16rocsparse_order_T1_S2_PKT2_lPT0_,@function
_ZN9rocsparseL14nnz_kernel_colILi256ElldEEv16rocsparse_order_T1_S2_PKT2_lPT0_: ; @_ZN9rocsparseL14nnz_kernel_colILi256ElldEEv16rocsparse_order_T1_S2_PKT2_lPT0_
; %bb.0:
	s_load_dwordx2 s[12:13], s[4:5], 0x8
	s_load_dword s0, s[4:5], 0x0
	s_load_dwordx4 s[8:11], s[4:5], 0x18
	s_mov_b32 s7, 0
	v_mov_b32_e32 v1, 0
	s_waitcnt lgkmcnt(0)
	s_ashr_i32 s1, s13, 31
	s_lshr_b32 s1, s1, 24
	s_add_u32 s1, s12, s1
	s_addc_u32 s15, s13, 0
	s_and_b32 s14, s1, 0xffffff00
	s_cmp_eq_u32 s0, 1
	s_cbranch_scc1 .LBB31_6
; %bb.1:
	v_mov_b32_e32 v2, 0x100
	v_mov_b32_e32 v3, 0
	v_cmp_lt_i64_e32 vcc, s[12:13], v[2:3]
	v_mov_b32_e32 v2, 0
	v_mov_b32_e32 v3, 0
	s_cbranch_vccnz .LBB31_7
; %bb.2:
	v_mad_u64_u32 v[2:3], s[0:1], s10, v0, 0
	s_lshl_b64 s[0:1], s[6:7], 3
	s_add_u32 s0, s8, s0
	v_mad_u64_u32 v[3:4], s[2:3], s11, v0, v[3:4]
	s_addc_u32 s1, s9, s1
	v_mov_b32_e32 v5, s1
	v_lshlrev_b64 v[2:3], 3, v[2:3]
	s_lshl_b64 s[2:3], s[10:11], 11
	v_add_co_u32_e32 v4, vcc, s0, v2
	v_addc_co_u32_e32 v5, vcc, v5, v3, vcc
	v_mov_b32_e32 v2, 0
	v_mov_b32_e32 v6, s14
	s_mov_b64 s[16:17], 0
	v_mov_b32_e32 v3, 0
	v_mov_b32_e32 v8, s3
	;; [unrolled: 1-line block ×3, first 2 shown]
	s_branch .LBB31_4
.LBB31_3:                               ;   in Loop: Header=BB31_4 Depth=1
	s_or_b64 exec, exec, s[0:1]
	s_add_u32 s16, s16, 0x100
	s_addc_u32 s17, s17, 0
	v_cmp_ge_i64_e32 vcc, s[16:17], v[6:7]
	v_add_co_u32_e64 v4, s[0:1], s2, v4
	v_addc_co_u32_e64 v5, s[0:1], v5, v8, s[0:1]
	s_cbranch_vccnz .LBB31_7
.LBB31_4:                               ; =>This Inner Loop Header: Depth=1
	v_mov_b32_e32 v10, s17
	v_add_co_u32_e32 v9, vcc, s16, v0
	v_addc_co_u32_e32 v10, vcc, 0, v10, vcc
	v_cmp_gt_i64_e32 vcc, s[12:13], v[9:10]
	s_and_saveexec_b64 s[0:1], vcc
	s_cbranch_execz .LBB31_3
; %bb.5:                                ;   in Loop: Header=BB31_4 Depth=1
	global_load_dwordx2 v[9:10], v[4:5], off
	s_waitcnt vmcnt(0)
	v_cmp_neq_f64_e32 vcc, 0, v[9:10]
	v_cndmask_b32_e64 v9, 0, 1, vcc
	v_add_co_u32_e32 v2, vcc, v2, v9
	v_addc_co_u32_e32 v3, vcc, 0, v3, vcc
	s_branch .LBB31_3
.LBB31_6:
                                        ; implicit-def: $vgpr2_vgpr3
	s_load_dwordx2 s[2:3], s[4:5], 0x28
	s_cbranch_execnz .LBB31_10
	s_branch .LBB31_16
.LBB31_7:
	v_mov_b32_e32 v5, s15
	v_add_co_u32_e32 v4, vcc, s14, v0
	v_addc_co_u32_e32 v5, vcc, 0, v5, vcc
	v_cmp_gt_i64_e32 vcc, s[12:13], v[4:5]
	s_and_saveexec_b64 s[0:1], vcc
	s_cbranch_execz .LBB31_9
; %bb.8:
	v_mul_lo_u32 v6, v5, s10
	v_mul_lo_u32 v7, v4, s11
	v_mad_u64_u32 v[4:5], s[2:3], v4, s10, 0
	s_lshl_b64 s[2:3], s[6:7], 3
	v_add3_u32 v5, v5, v7, v6
	v_lshlrev_b64 v[4:5], 3, v[4:5]
	v_mov_b32_e32 v6, s9
	v_add_co_u32_e32 v4, vcc, s8, v4
	v_addc_co_u32_e32 v5, vcc, v6, v5, vcc
	v_mov_b32_e32 v6, s3
	v_add_co_u32_e32 v4, vcc, s2, v4
	v_addc_co_u32_e32 v5, vcc, v5, v6, vcc
	global_load_dwordx2 v[4:5], v[4:5], off
	s_waitcnt vmcnt(0)
	v_cmp_neq_f64_e32 vcc, 0, v[4:5]
	v_cndmask_b32_e64 v4, 0, 1, vcc
	v_add_co_u32_e32 v2, vcc, v2, v4
	v_addc_co_u32_e32 v3, vcc, 0, v3, vcc
.LBB31_9:
	s_or_b64 exec, exec, s[0:1]
	s_load_dwordx2 s[2:3], s[4:5], 0x28
	s_branch .LBB31_16
.LBB31_10:
	s_mul_i32 s0, s11, s6
	s_mul_hi_u32 s1, s10, s6
	s_add_i32 s1, s1, s0
	s_mul_i32 s0, s10, s6
	v_cmp_gt_i64_e32 vcc, s[12:13], v[0:1]
	s_lshl_b64 s[0:1], s[0:1], 3
	s_add_u32 s0, s8, s0
	v_cndmask_b32_e32 v1, 0, v0, vcc
	s_addc_u32 s1, s9, s1
	v_lshlrev_b32_e32 v3, 3, v1
	v_mov_b32_e32 v5, s1
	v_mov_b32_e32 v1, 0x100
	v_add_co_u32_e32 v4, vcc, s0, v3
	v_mov_b32_e32 v2, 0
	v_addc_co_u32_e32 v5, vcc, 0, v5, vcc
	v_cmp_lt_i64_e32 vcc, s[12:13], v[1:2]
	v_mov_b32_e32 v2, 0
	v_mov_b32_e32 v3, 0
	s_cbranch_vccnz .LBB31_13
; %bb.11:
	v_mov_b32_e32 v2, 0
	v_mov_b32_e32 v6, s14
	;; [unrolled: 1-line block ×3, first 2 shown]
	s_mov_b64 s[4:5], 0
	v_mov_b32_e32 v3, 0
	v_mov_b32_e32 v7, s15
	v_mov_b32_e32 v8, v4
.LBB31_12:                              ; =>This Inner Loop Header: Depth=1
	global_load_dwordx2 v[10:11], v[8:9], off
	s_add_u32 s4, s4, 0x100
	v_add_co_u32_e32 v8, vcc, 0x800, v8
	s_addc_u32 s5, s5, 0
	v_addc_co_u32_e32 v9, vcc, 0, v9, vcc
	v_cmp_ge_i64_e32 vcc, s[4:5], v[6:7]
	s_and_b64 vcc, exec, vcc
	s_waitcnt vmcnt(0)
	v_cmp_neq_f64_e64 s[0:1], 0, v[10:11]
	v_cndmask_b32_e64 v1, 0, 1, s[0:1]
	v_add_co_u32_e64 v2, s[0:1], v2, v1
	v_addc_co_u32_e64 v3, s[0:1], 0, v3, s[0:1]
	s_cbranch_vccz .LBB31_12
.LBB31_13:
	v_mov_b32_e32 v1, s15
	v_add_co_u32_e32 v6, vcc, s14, v0
	v_addc_co_u32_e32 v7, vcc, 0, v1, vcc
	v_cmp_gt_i64_e32 vcc, s[12:13], v[6:7]
	s_and_saveexec_b64 s[0:1], vcc
	s_cbranch_execz .LBB31_15
; %bb.14:
	s_lshl_b64 s[4:5], s[14:15], 3
	v_mov_b32_e32 v1, s5
	v_add_co_u32_e32 v4, vcc, s4, v4
	v_addc_co_u32_e32 v5, vcc, v5, v1, vcc
	global_load_dwordx2 v[4:5], v[4:5], off
	s_waitcnt vmcnt(0)
	v_cmp_neq_f64_e32 vcc, 0, v[4:5]
	v_cndmask_b32_e64 v1, 0, 1, vcc
	v_add_co_u32_e32 v2, vcc, v2, v1
	v_addc_co_u32_e32 v3, vcc, 0, v3, vcc
.LBB31_15:
	s_or_b64 exec, exec, s[0:1]
.LBB31_16:
	v_mov_b32_e32 v5, 0x100
	v_mov_b32_e32 v6, 0
	v_cmp_lt_i64_e32 vcc, s[12:13], v[5:6]
	v_lshlrev_b32_e32 v4, 3, v0
	s_mov_b64 s[4:5], -1
	v_cmp_eq_u32_e64 s[0:1], 0, v0
	ds_write_b64 v4, v[2:3]
	s_waitcnt lgkmcnt(0)
	s_cbranch_vccnz .LBB31_20
; %bb.17:
	s_and_b64 vcc, exec, s[4:5]
	s_cbranch_vccnz .LBB31_29
.LBB31_18:
	v_cmp_eq_u32_e32 vcc, 0, v0
	s_and_saveexec_b64 s[0:1], vcc
	s_cbranch_execnz .LBB31_46
.LBB31_19:
	s_endpgm
.LBB31_20:
	v_cmp_gt_i64_e64 s[4:5], s[12:13], 1
	s_mov_b64 s[8:9], 1
	s_and_b64 s[4:5], s[0:1], s[4:5]
	s_barrier
	s_and_saveexec_b64 s[0:1], s[4:5]
	s_cbranch_execz .LBB31_28
; %bb.21:
	s_add_u32 s9, s12, -1
	v_mov_b32_e32 v1, 0
	s_addc_u32 s5, s13, -1
	ds_read_b64 v[1:2], v1
	s_add_u32 s10, s12, -2
	s_addc_u32 s11, s13, -1
	v_cmp_lt_u64_e64 s[10:11], s[10:11], 7
	s_and_b64 vcc, exec, s[10:11]
	s_cbranch_vccnz .LBB31_24
; %bb.22:
	s_and_b32 s4, s9, -8
	s_mov_b64 s[10:11], 0
	s_mov_b32 s12, 8
.LBB31_23:                              ; =>This Inner Loop Header: Depth=1
	v_mov_b32_e32 v3, s12
	ds_read2_b64 v[5:8], v3 offset1:1
	ds_read2_b64 v[9:12], v3 offset0:2 offset1:3
	ds_read2_b64 v[13:16], v3 offset0:4 offset1:5
	;; [unrolled: 1-line block ×3, first 2 shown]
	s_add_u32 s14, s10, 8
	s_waitcnt lgkmcnt(3)
	v_add_co_u32_e32 v1, vcc, v1, v5
	v_addc_co_u32_e32 v2, vcc, v2, v6, vcc
	v_add_co_u32_e32 v1, vcc, v1, v7
	v_addc_co_u32_e32 v2, vcc, v2, v8, vcc
	s_waitcnt lgkmcnt(2)
	v_add_co_u32_e32 v1, vcc, v1, v9
	v_addc_co_u32_e32 v2, vcc, v2, v10, vcc
	v_add_co_u32_e32 v1, vcc, v1, v11
	v_addc_co_u32_e32 v2, vcc, v2, v12, vcc
	;; [unrolled: 5-line block ×3, first 2 shown]
	s_waitcnt lgkmcnt(0)
	v_add_co_u32_e32 v1, vcc, v1, v17
	v_addc_co_u32_e32 v2, vcc, v2, v18, vcc
	s_addc_u32 s15, s11, 0
	s_add_i32 s12, s12, 64
	s_add_u32 s8, s10, 9
	v_add_co_u32_e32 v1, vcc, v1, v19
	s_cmp_lg_u64 s[4:5], s[14:15]
	s_mov_b64 s[10:11], s[14:15]
	v_addc_co_u32_e32 v2, vcc, v2, v20, vcc
	s_cbranch_scc1 .LBB31_23
.LBB31_24:
	s_and_b32 s4, s9, 7
	s_mov_b32 s5, 0
	s_cmp_eq_u64 s[4:5], 0
	s_cbranch_scc1 .LBB31_27
; %bb.25:
	s_lshl_b32 s8, s8, 3
.LBB31_26:                              ; =>This Inner Loop Header: Depth=1
	v_mov_b32_e32 v3, s8
	ds_read_b64 v[5:6], v3
	s_add_i32 s8, s8, 8
	s_add_u32 s4, s4, -1
	s_addc_u32 s5, s5, -1
	s_cmp_lg_u64 s[4:5], 0
	s_waitcnt lgkmcnt(0)
	v_add_co_u32_e32 v1, vcc, v1, v5
	v_addc_co_u32_e32 v2, vcc, v2, v6, vcc
	s_cbranch_scc1 .LBB31_26
.LBB31_27:
	v_mov_b32_e32 v3, 0
	s_waitcnt lgkmcnt(0)
	ds_write_b64 v3, v[1:2]
.LBB31_28:
	s_or_b64 exec, exec, s[0:1]
	s_waitcnt lgkmcnt(0)
	s_barrier
	s_branch .LBB31_18
.LBB31_29:
	s_movk_i32 s0, 0x80
	v_cmp_gt_u32_e32 vcc, s0, v0
	s_barrier
	s_and_saveexec_b64 s[0:1], vcc
	s_cbranch_execz .LBB31_31
; %bb.30:
	ds_read2st64_b64 v[5:8], v4 offset1:2
	s_waitcnt lgkmcnt(0)
	v_add_co_u32_e32 v1, vcc, v5, v7
	v_addc_co_u32_e32 v2, vcc, v6, v8, vcc
	ds_write_b64 v4, v[1:2]
.LBB31_31:
	s_or_b64 exec, exec, s[0:1]
	v_cmp_gt_u32_e32 vcc, 64, v0
	s_waitcnt lgkmcnt(0)
	s_barrier
	s_and_saveexec_b64 s[0:1], vcc
	s_cbranch_execz .LBB31_33
; %bb.32:
	ds_read2st64_b64 v[5:8], v4 offset1:1
	s_waitcnt lgkmcnt(0)
	v_add_co_u32_e32 v1, vcc, v5, v7
	v_addc_co_u32_e32 v2, vcc, v6, v8, vcc
	ds_write_b64 v4, v[1:2]
.LBB31_33:
	s_or_b64 exec, exec, s[0:1]
	v_cmp_gt_u32_e32 vcc, 32, v0
	s_waitcnt lgkmcnt(0)
	s_barrier
	s_and_saveexec_b64 s[0:1], vcc
	s_cbranch_execz .LBB31_35
; %bb.34:
	ds_read2_b64 v[5:8], v4 offset1:32
	s_waitcnt lgkmcnt(0)
	v_add_co_u32_e32 v1, vcc, v5, v7
	v_addc_co_u32_e32 v2, vcc, v6, v8, vcc
	ds_write_b64 v4, v[1:2]
.LBB31_35:
	s_or_b64 exec, exec, s[0:1]
	v_cmp_gt_u32_e32 vcc, 16, v0
	s_waitcnt lgkmcnt(0)
	s_barrier
	s_and_saveexec_b64 s[0:1], vcc
	s_cbranch_execz .LBB31_37
; %bb.36:
	ds_read2_b64 v[5:8], v4 offset1:16
	s_waitcnt lgkmcnt(0)
	v_add_co_u32_e32 v1, vcc, v5, v7
	v_addc_co_u32_e32 v2, vcc, v6, v8, vcc
	ds_write_b64 v4, v[1:2]
.LBB31_37:
	;; [unrolled: 13-line block ×5, first 2 shown]
	s_or_b64 exec, exec, s[0:1]
	v_cmp_eq_u32_e32 vcc, 0, v0
	s_waitcnt lgkmcnt(0)
	s_barrier
	s_and_saveexec_b64 s[0:1], vcc
	s_cbranch_execz .LBB31_45
; %bb.44:
	v_mov_b32_e32 v5, 0
	ds_read_b128 v[1:4], v5
	s_waitcnt lgkmcnt(0)
	v_add_co_u32_e32 v1, vcc, v1, v3
	v_addc_co_u32_e32 v2, vcc, v2, v4, vcc
	ds_write_b64 v5, v[1:2]
.LBB31_45:
	s_or_b64 exec, exec, s[0:1]
	s_waitcnt lgkmcnt(0)
	s_barrier
	v_cmp_eq_u32_e32 vcc, 0, v0
	s_and_saveexec_b64 s[0:1], vcc
	s_cbranch_execz .LBB31_19
.LBB31_46:
	v_mov_b32_e32 v2, 0
	ds_read_b64 v[0:1], v2
	s_lshl_b64 s[0:1], s[6:7], 3
	s_add_u32 s0, s2, s0
	s_addc_u32 s1, s3, s1
	s_waitcnt lgkmcnt(0)
	global_store_dwordx2 v2, v[0:1], s[0:1]
	s_endpgm
	.section	.rodata,"a",@progbits
	.p2align	6, 0x0
	.amdhsa_kernel _ZN9rocsparseL14nnz_kernel_colILi256ElldEEv16rocsparse_order_T1_S2_PKT2_lPT0_
		.amdhsa_group_segment_fixed_size 2048
		.amdhsa_private_segment_fixed_size 0
		.amdhsa_kernarg_size 48
		.amdhsa_user_sgpr_count 6
		.amdhsa_user_sgpr_private_segment_buffer 1
		.amdhsa_user_sgpr_dispatch_ptr 0
		.amdhsa_user_sgpr_queue_ptr 0
		.amdhsa_user_sgpr_kernarg_segment_ptr 1
		.amdhsa_user_sgpr_dispatch_id 0
		.amdhsa_user_sgpr_flat_scratch_init 0
		.amdhsa_user_sgpr_private_segment_size 0
		.amdhsa_uses_dynamic_stack 0
		.amdhsa_system_sgpr_private_segment_wavefront_offset 0
		.amdhsa_system_sgpr_workgroup_id_x 1
		.amdhsa_system_sgpr_workgroup_id_y 0
		.amdhsa_system_sgpr_workgroup_id_z 0
		.amdhsa_system_sgpr_workgroup_info 0
		.amdhsa_system_vgpr_workitem_id 0
		.amdhsa_next_free_vgpr 21
		.amdhsa_next_free_sgpr 18
		.amdhsa_reserve_vcc 1
		.amdhsa_reserve_flat_scratch 0
		.amdhsa_float_round_mode_32 0
		.amdhsa_float_round_mode_16_64 0
		.amdhsa_float_denorm_mode_32 3
		.amdhsa_float_denorm_mode_16_64 3
		.amdhsa_dx10_clamp 1
		.amdhsa_ieee_mode 1
		.amdhsa_fp16_overflow 0
		.amdhsa_exception_fp_ieee_invalid_op 0
		.amdhsa_exception_fp_denorm_src 0
		.amdhsa_exception_fp_ieee_div_zero 0
		.amdhsa_exception_fp_ieee_overflow 0
		.amdhsa_exception_fp_ieee_underflow 0
		.amdhsa_exception_fp_ieee_inexact 0
		.amdhsa_exception_int_div_zero 0
	.end_amdhsa_kernel
	.section	.text._ZN9rocsparseL14nnz_kernel_colILi256ElldEEv16rocsparse_order_T1_S2_PKT2_lPT0_,"axG",@progbits,_ZN9rocsparseL14nnz_kernel_colILi256ElldEEv16rocsparse_order_T1_S2_PKT2_lPT0_,comdat
.Lfunc_end31:
	.size	_ZN9rocsparseL14nnz_kernel_colILi256ElldEEv16rocsparse_order_T1_S2_PKT2_lPT0_, .Lfunc_end31-_ZN9rocsparseL14nnz_kernel_colILi256ElldEEv16rocsparse_order_T1_S2_PKT2_lPT0_
                                        ; -- End function
	.set _ZN9rocsparseL14nnz_kernel_colILi256ElldEEv16rocsparse_order_T1_S2_PKT2_lPT0_.num_vgpr, 21
	.set _ZN9rocsparseL14nnz_kernel_colILi256ElldEEv16rocsparse_order_T1_S2_PKT2_lPT0_.num_agpr, 0
	.set _ZN9rocsparseL14nnz_kernel_colILi256ElldEEv16rocsparse_order_T1_S2_PKT2_lPT0_.numbered_sgpr, 18
	.set _ZN9rocsparseL14nnz_kernel_colILi256ElldEEv16rocsparse_order_T1_S2_PKT2_lPT0_.num_named_barrier, 0
	.set _ZN9rocsparseL14nnz_kernel_colILi256ElldEEv16rocsparse_order_T1_S2_PKT2_lPT0_.private_seg_size, 0
	.set _ZN9rocsparseL14nnz_kernel_colILi256ElldEEv16rocsparse_order_T1_S2_PKT2_lPT0_.uses_vcc, 1
	.set _ZN9rocsparseL14nnz_kernel_colILi256ElldEEv16rocsparse_order_T1_S2_PKT2_lPT0_.uses_flat_scratch, 0
	.set _ZN9rocsparseL14nnz_kernel_colILi256ElldEEv16rocsparse_order_T1_S2_PKT2_lPT0_.has_dyn_sized_stack, 0
	.set _ZN9rocsparseL14nnz_kernel_colILi256ElldEEv16rocsparse_order_T1_S2_PKT2_lPT0_.has_recursion, 0
	.set _ZN9rocsparseL14nnz_kernel_colILi256ElldEEv16rocsparse_order_T1_S2_PKT2_lPT0_.has_indirect_call, 0
	.section	.AMDGPU.csdata,"",@progbits
; Kernel info:
; codeLenInByte = 1572
; TotalNumSgprs: 22
; NumVgprs: 21
; ScratchSize: 0
; MemoryBound: 0
; FloatMode: 240
; IeeeMode: 1
; LDSByteSize: 2048 bytes/workgroup (compile time only)
; SGPRBlocks: 2
; VGPRBlocks: 5
; NumSGPRsForWavesPerEU: 22
; NumVGPRsForWavesPerEU: 21
; Occupancy: 10
; WaveLimiterHint : 0
; COMPUTE_PGM_RSRC2:SCRATCH_EN: 0
; COMPUTE_PGM_RSRC2:USER_SGPR: 6
; COMPUTE_PGM_RSRC2:TRAP_HANDLER: 0
; COMPUTE_PGM_RSRC2:TGID_X_EN: 1
; COMPUTE_PGM_RSRC2:TGID_Y_EN: 0
; COMPUTE_PGM_RSRC2:TGID_Z_EN: 0
; COMPUTE_PGM_RSRC2:TIDIG_COMP_CNT: 0
	.section	.text._ZN9rocsparseL14nnz_kernel_rowILi64ELi16Ell21rocsparse_complex_numIfEEEv16rocsparse_order_T2_S4_PKT3_lPT1_,"axG",@progbits,_ZN9rocsparseL14nnz_kernel_rowILi64ELi16Ell21rocsparse_complex_numIfEEEv16rocsparse_order_T2_S4_PKT3_lPT1_,comdat
	.globl	_ZN9rocsparseL14nnz_kernel_rowILi64ELi16Ell21rocsparse_complex_numIfEEEv16rocsparse_order_T2_S4_PKT3_lPT1_ ; -- Begin function _ZN9rocsparseL14nnz_kernel_rowILi64ELi16Ell21rocsparse_complex_numIfEEEv16rocsparse_order_T2_S4_PKT3_lPT1_
	.p2align	8
	.type	_ZN9rocsparseL14nnz_kernel_rowILi64ELi16Ell21rocsparse_complex_numIfEEEv16rocsparse_order_T2_S4_PKT3_lPT1_,@function
_ZN9rocsparseL14nnz_kernel_rowILi64ELi16Ell21rocsparse_complex_numIfEEEv16rocsparse_order_T2_S4_PKT3_lPT1_: ; @_ZN9rocsparseL14nnz_kernel_rowILi64ELi16Ell21rocsparse_complex_numIfEEEv16rocsparse_order_T2_S4_PKT3_lPT1_
; %bb.0:
	s_load_dword s0, s[4:5], 0x3c
	s_load_dwordx2 s[34:35], s[4:5], 0x28
	s_load_dword s50, s[4:5], 0x0
	s_load_dwordx8 s[24:31], s[4:5], 0x8
	s_lshl_b32 s33, s6, 8
	s_waitcnt lgkmcnt(0)
	s_and_b32 s0, s0, 0xffff
	v_mad_u32_u24 v28, v1, s0, v0
	v_mov_b32_e32 v19, 0
	s_ashr_i32 s0, s27, 31
	s_lshr_b32 s0, s0, 26
	s_add_u32 s0, s26, s0
	v_lshrrev_b32_e32 v0, 4, v28
	v_and_b32_e32 v29, 63, v28
	s_addc_u32 s39, s27, 0
	s_and_b32 s38, s0, 0xffffffc0
	v_and_b32_e32 v16, 0x7ffffc, v0
	v_mov_b32_e32 v17, v19
	v_or_b32_e32 v18, s33, v29
	s_sub_u32 s36, s26, s38
	v_cmp_gt_i64_e32 vcc, s[38:39], v[16:17]
	s_subb_u32 s37, s27, s39
	v_mov_b32_e32 v0, v19
	v_mov_b32_e32 v1, v19
	;; [unrolled: 1-line block ×8, first 2 shown]
	v_or_b32_e32 v20, 64, v18
	s_and_saveexec_b64 s[40:41], vcc
	s_cbranch_execz .LBB32_28
; %bb.1:
	v_or_b32_e32 v0, 0x80, v18
	v_mov_b32_e32 v1, v19
	v_cmp_gt_i64_e64 s[0:1], s[24:25], v[0:1]
	v_add_co_u32_e32 v0, vcc, s33, v29
	v_addc_co_u32_e64 v1, s[2:3], 0, 0, vcc
	v_mul_lo_u32 v6, s31, v0
	v_mul_lo_u32 v7, s30, v1
	v_mad_u64_u32 v[2:3], s[2:3], s30, v0, 0
	v_or_b32_e32 v4, 0xc0, v18
	v_mov_b32_e32 v5, v19
	v_cmp_gt_i64_e64 s[2:3], s[24:25], v[4:5]
	v_add_co_u32_e32 v4, vcc, 64, v0
	v_addc_co_u32_e32 v5, vcc, 0, v1, vcc
	v_add3_u32 v3, v3, v7, v6
	v_mul_lo_u32 v7, s31, v4
	v_mul_lo_u32 v9, s30, v5
	v_mad_u64_u32 v[4:5], s[4:5], s30, v4, 0
	v_lshlrev_b64 v[2:3], 3, v[2:3]
	v_lshrrev_b32_e32 v6, 6, v28
	v_lshlrev_b32_e32 v8, 5, v6
	v_add_co_u32_e32 v26, vcc, v2, v8
	s_movk_i32 s6, 0x80
	v_addc_co_u32_e32 v27, vcc, 0, v3, vcc
	v_add3_u32 v5, v5, v9, v7
	v_lshlrev_b64 v[2:3], 3, v[4:5]
	v_add_co_u32_e32 v4, vcc, s6, v0
	v_addc_co_u32_e32 v5, vcc, 0, v1, vcc
	v_mul_lo_u32 v7, s31, v4
	v_mul_lo_u32 v9, s30, v5
	v_mad_u64_u32 v[4:5], s[4:5], s30, v4, 0
	v_add_co_u32_e32 v30, vcc, v2, v8
	s_movk_i32 s7, 0xc0
	v_addc_co_u32_e32 v31, vcc, 0, v3, vcc
	v_add3_u32 v5, v5, v9, v7
	v_lshlrev_b64 v[2:3], 3, v[4:5]
	v_add_co_u32_e32 v4, vcc, s7, v0
	v_addc_co_u32_e32 v5, vcc, 0, v1, vcc
	v_mul_lo_u32 v7, s31, v4
	v_mul_lo_u32 v9, s30, v5
	v_mad_u64_u32 v[4:5], s[4:5], s30, v4, 0
	v_lshlrev_b64 v[0:1], 3, v[0:1]
	v_or_b32_e32 v10, 24, v8
	v_mad_u64_u32 v[22:23], s[4:5], s30, v10, v[0:1]
	v_add_co_u32_e32 v32, vcc, v2, v8
	v_add3_u32 v5, v5, v9, v7
	v_addc_co_u32_e32 v33, vcc, 0, v3, vcc
	v_lshlrev_b64 v[2:3], 3, v[4:5]
	v_mov_b32_e32 v4, v23
	v_add_co_u32_e32 v34, vcc, v2, v8
	v_or_b32_e32 v7, 16, v8
	v_mad_u64_u32 v[4:5], s[4:5], s31, v10, v[4:5]
	v_addc_co_u32_e32 v35, vcc, 0, v3, vcc
	v_mad_u64_u32 v[2:3], s[4:5], s30, v6, 0
	v_mad_u64_u32 v[23:24], s[4:5], s30, v7, v[0:1]
	;; [unrolled: 1-line block ×3, first 2 shown]
	v_mov_b32_e32 v3, v24
	v_mad_u64_u32 v[6:7], s[4:5], s31, v7, v[3:4]
	v_or_b32_e32 v7, 8, v8
	v_mad_u64_u32 v[24:25], s[4:5], s30, v7, v[0:1]
	v_mov_b32_e32 v36, v4
	v_mov_b32_e32 v3, v5
	;; [unrolled: 1-line block ×3, first 2 shown]
	v_mad_u64_u32 v[4:5], s[4:5], s31, v7, v[4:5]
	v_lshlrev_b64 v[2:3], 5, v[2:3]
	v_mov_b32_e32 v21, v19
	s_cmp_lg_u32 s50, 1
	v_cmp_gt_i64_e64 s[4:5], s[24:25], v[18:19]
	v_cmp_gt_i64_e64 s[6:7], s[24:25], v[20:21]
	v_add_co_u32_e32 v25, vcc, v2, v0
	v_mov_b32_e32 v37, v6
	s_cselect_b64 s[42:43], -1, 0
	s_lshl_b64 s[44:45], s[30:31], 9
	v_mov_b32_e32 v21, v4
	v_addc_co_u32_e32 v38, vcc, v3, v1, vcc
	v_mov_b32_e32 v0, v19
	v_mov_b32_e32 v1, v19
	;; [unrolled: 1-line block ×8, first 2 shown]
	s_mov_b64 s[46:47], 0
	s_branch .LBB32_4
.LBB32_2:                               ;   in Loop: Header=BB32_4 Depth=1
	v_mov_b32_e32 v0, v8
	v_mov_b32_e32 v1, v9
	v_mov_b32_e32 v2, v10
	v_mov_b32_e32 v3, v11
	v_mov_b32_e32 v4, v12
	v_mov_b32_e32 v5, v13
	v_mov_b32_e32 v6, v14
	v_mov_b32_e32 v7, v15
.LBB32_3:                               ;   in Loop: Header=BB32_4 Depth=1
	s_or_b64 exec, exec, s[22:23]
	v_add_co_u32_e32 v16, vcc, 64, v16
	v_addc_co_u32_e32 v17, vcc, 0, v17, vcc
	v_add_co_u32_e32 v26, vcc, 0x200, v26
	v_addc_co_u32_e32 v27, vcc, 0, v27, vcc
	v_add_co_u32_e32 v30, vcc, 0x200, v30
	v_addc_co_u32_e32 v31, vcc, 0, v31, vcc
	v_add_co_u32_e32 v32, vcc, 0x200, v32
	v_addc_co_u32_e32 v33, vcc, 0, v33, vcc
	v_add_co_u32_e32 v34, vcc, 0x200, v34
	v_addc_co_u32_e32 v35, vcc, 0, v35, vcc
	v_mov_b32_e32 v8, s45
	v_add_co_u32_e32 v22, vcc, s44, v22
	v_addc_co_u32_e32 v36, vcc, v36, v8, vcc
	v_add_co_u32_e32 v23, vcc, s44, v23
	v_addc_co_u32_e32 v37, vcc, v37, v8, vcc
	v_cmp_le_i64_e32 vcc, s[38:39], v[16:17]
	v_add_co_u32_e64 v24, s[8:9], s44, v24
	s_or_b64 s[46:47], vcc, s[46:47]
	v_add_co_u32_e32 v25, vcc, s44, v25
	v_addc_co_u32_e64 v21, s[8:9], v21, v8, s[8:9]
	v_addc_co_u32_e32 v38, vcc, v38, v8, vcc
	s_andn2_b64 exec, exec, s[46:47]
	s_cbranch_execz .LBB32_27
.LBB32_4:                               ; =>This Inner Loop Header: Depth=1
	v_cndmask_b32_e64 v8, 0, 1, s[42:43]
	v_cmp_ne_u32_e64 s[8:9], 1, v8
	s_and_saveexec_b64 s[48:49], s[4:5]
	s_cbranch_execnz .LBB32_8
; %bb.5:                                ;   in Loop: Header=BB32_4 Depth=1
	s_or_b64 exec, exec, s[48:49]
	s_and_saveexec_b64 s[48:49], s[6:7]
	s_cbranch_execnz .LBB32_13
.LBB32_6:                               ;   in Loop: Header=BB32_4 Depth=1
	s_or_b64 exec, exec, s[48:49]
	s_and_saveexec_b64 s[48:49], s[0:1]
	s_cbranch_execnz .LBB32_18
.LBB32_7:                               ;   in Loop: Header=BB32_4 Depth=1
	s_or_b64 exec, exec, s[48:49]
	s_and_saveexec_b64 s[22:23], s[2:3]
	s_cbranch_execz .LBB32_3
	s_branch .LBB32_23
.LBB32_8:                               ;   in Loop: Header=BB32_4 Depth=1
	s_and_b64 vcc, exec, s[8:9]
	s_mov_b64 s[10:11], -1
                                        ; implicit-def: $vgpr8_vgpr9_vgpr10_vgpr11_vgpr12_vgpr13_vgpr14_vgpr15
	s_cbranch_vccnz .LBB32_10
; %bb.9:                                ;   in Loop: Header=BB32_4 Depth=1
	v_mov_b32_e32 v9, s29
	v_add_co_u32_e32 v8, vcc, s28, v26
	v_addc_co_u32_e32 v9, vcc, v9, v27, vcc
	global_load_dwordx4 v[39:42], v[8:9], off
	global_load_dwordx4 v[43:46], v[8:9], off offset:16
	v_add_co_u32_e32 v8, vcc, 1, v0
	v_addc_co_u32_e32 v9, vcc, 0, v1, vcc
	v_mov_b32_e32 v10, v2
	v_mov_b32_e32 v11, v3
	;; [unrolled: 1-line block ×6, first 2 shown]
	s_waitcnt vmcnt(1)
	v_cmp_neq_f32_e32 vcc, 0, v39
	v_cmp_neq_f32_e64 s[10:11], 0, v40
	s_or_b64 vcc, vcc, s[10:11]
	v_cmp_neq_f32_e64 s[12:13], 0, v41
	v_cmp_neq_f32_e64 s[14:15], 0, v42
	v_cndmask_b32_e32 v8, v0, v8, vcc
	s_or_b64 s[10:11], s[12:13], s[14:15]
	v_cndmask_b32_e32 v9, v1, v9, vcc
	v_add_co_u32_e32 v39, vcc, 1, v8
	s_waitcnt vmcnt(0)
	v_cmp_neq_f32_e64 s[16:17], 0, v43
	v_cmp_neq_f32_e64 s[18:19], 0, v44
	v_addc_co_u32_e32 v40, vcc, 0, v9, vcc
	v_cndmask_b32_e64 v8, v8, v39, s[10:11]
	s_or_b64 s[12:13], s[16:17], s[18:19]
	v_cndmask_b32_e64 v9, v9, v40, s[10:11]
	v_add_co_u32_e32 v39, vcc, 1, v8
	v_addc_co_u32_e32 v40, vcc, 0, v9, vcc
	v_cndmask_b32_e64 v8, v8, v39, s[12:13]
	v_cmp_neq_f32_e64 s[20:21], 0, v45
	v_cmp_neq_f32_e64 s[22:23], 0, v46
	v_cndmask_b32_e64 v9, v9, v40, s[12:13]
	v_add_co_u32_e32 v39, vcc, 1, v8
	s_or_b64 s[14:15], s[20:21], s[22:23]
	v_addc_co_u32_e32 v40, vcc, 0, v9, vcc
	v_cndmask_b32_e64 v8, v8, v39, s[14:15]
	v_cndmask_b32_e64 v9, v9, v40, s[14:15]
	s_mov_b64 s[10:11], 0
.LBB32_10:                              ;   in Loop: Header=BB32_4 Depth=1
	s_andn2_b64 vcc, exec, s[10:11]
	s_cbranch_vccnz .LBB32_12
; %bb.11:                               ;   in Loop: Header=BB32_4 Depth=1
	v_mov_b32_e32 v9, s29
	v_add_co_u32_e32 v8, vcc, s28, v25
	v_addc_co_u32_e32 v9, vcc, v9, v38, vcc
	v_mov_b32_e32 v11, s29
	v_add_co_u32_e32 v10, vcc, s28, v24
	v_addc_co_u32_e32 v11, vcc, v11, v21, vcc
	;; [unrolled: 3-line block ×3, first 2 shown]
	global_load_dwordx2 v[8:9], v[8:9], off
	s_nop 0
	global_load_dwordx2 v[10:11], v[10:11], off
	s_nop 0
	global_load_dwordx2 v[12:13], v[12:13], off
	v_mov_b32_e32 v15, s29
	v_add_co_u32_e32 v14, vcc, s28, v22
	v_addc_co_u32_e32 v15, vcc, v15, v36, vcc
	global_load_dwordx2 v[14:15], v[14:15], off
	v_add_co_u32_e32 v39, vcc, 1, v0
	v_addc_co_u32_e32 v40, vcc, 0, v1, vcc
	s_waitcnt vmcnt(3)
	v_cmp_neq_f32_e32 vcc, 0, v8
	v_cmp_neq_f32_e64 s[10:11], 0, v9
	s_or_b64 vcc, vcc, s[10:11]
	v_cndmask_b32_e32 v0, v0, v39, vcc
	v_cndmask_b32_e32 v1, v1, v40, vcc
	v_add_co_u32_e32 v8, vcc, 1, v0
	s_waitcnt vmcnt(2)
	v_cmp_neq_f32_e64 s[12:13], 0, v10
	v_cmp_neq_f32_e64 s[14:15], 0, v11
	v_addc_co_u32_e32 v9, vcc, 0, v1, vcc
	s_or_b64 vcc, s[12:13], s[14:15]
	v_cndmask_b32_e32 v0, v0, v8, vcc
	v_cndmask_b32_e32 v1, v1, v9, vcc
	v_add_co_u32_e32 v8, vcc, 1, v0
	s_waitcnt vmcnt(1)
	v_cmp_neq_f32_e64 s[16:17], 0, v12
	v_cmp_neq_f32_e64 s[18:19], 0, v13
	v_addc_co_u32_e32 v9, vcc, 0, v1, vcc
	s_or_b64 vcc, s[16:17], s[18:19]
	;; [unrolled: 8-line block ×3, first 2 shown]
	v_cndmask_b32_e32 v1, v1, v9, vcc
	v_cndmask_b32_e32 v0, v0, v8, vcc
	v_mov_b32_e32 v15, v7
	v_mov_b32_e32 v14, v6
	;; [unrolled: 1-line block ×8, first 2 shown]
.LBB32_12:                              ;   in Loop: Header=BB32_4 Depth=1
	v_mov_b32_e32 v0, v8
	v_mov_b32_e32 v1, v9
	;; [unrolled: 1-line block ×8, first 2 shown]
	s_or_b64 exec, exec, s[48:49]
	s_and_saveexec_b64 s[48:49], s[6:7]
	s_cbranch_execz .LBB32_6
.LBB32_13:                              ;   in Loop: Header=BB32_4 Depth=1
	s_and_b64 vcc, exec, s[8:9]
	s_mov_b64 s[10:11], -1
                                        ; implicit-def: $vgpr8_vgpr9_vgpr10_vgpr11_vgpr12_vgpr13_vgpr14_vgpr15
	s_cbranch_vccnz .LBB32_15
; %bb.14:                               ;   in Loop: Header=BB32_4 Depth=1
	v_mov_b32_e32 v9, s29
	v_add_co_u32_e32 v8, vcc, s28, v30
	v_addc_co_u32_e32 v9, vcc, v9, v31, vcc
	global_load_dwordx4 v[39:42], v[8:9], off
	global_load_dwordx4 v[43:46], v[8:9], off offset:16
	v_add_co_u32_e32 v10, vcc, 1, v2
	v_addc_co_u32_e32 v11, vcc, 0, v3, vcc
	v_mov_b32_e32 v8, v0
	v_mov_b32_e32 v9, v1
	;; [unrolled: 1-line block ×6, first 2 shown]
	s_waitcnt vmcnt(1)
	v_cmp_neq_f32_e32 vcc, 0, v39
	v_cmp_neq_f32_e64 s[10:11], 0, v40
	s_or_b64 vcc, vcc, s[10:11]
	v_cndmask_b32_e32 v10, v2, v10, vcc
	v_cndmask_b32_e32 v11, v3, v11, vcc
	v_add_co_u32_e32 v39, vcc, 1, v10
	v_cmp_neq_f32_e64 s[12:13], 0, v41
	v_cmp_neq_f32_e64 s[14:15], 0, v42
	v_addc_co_u32_e32 v40, vcc, 0, v11, vcc
	s_or_b64 vcc, s[12:13], s[14:15]
	v_cndmask_b32_e32 v10, v10, v39, vcc
	v_cndmask_b32_e32 v11, v11, v40, vcc
	v_add_co_u32_e32 v39, vcc, 1, v10
	s_waitcnt vmcnt(0)
	v_cmp_neq_f32_e64 s[16:17], 0, v43
	v_cmp_neq_f32_e64 s[18:19], 0, v44
	v_addc_co_u32_e32 v40, vcc, 0, v11, vcc
	s_or_b64 vcc, s[16:17], s[18:19]
	v_cndmask_b32_e32 v10, v10, v39, vcc
	v_cndmask_b32_e32 v11, v11, v40, vcc
	v_add_co_u32_e32 v39, vcc, 1, v10
	v_cmp_neq_f32_e64 s[20:21], 0, v45
	v_cmp_neq_f32_e64 s[22:23], 0, v46
	v_addc_co_u32_e32 v40, vcc, 0, v11, vcc
	s_or_b64 vcc, s[20:21], s[22:23]
	v_cndmask_b32_e32 v11, v11, v40, vcc
	v_cndmask_b32_e32 v10, v10, v39, vcc
	s_mov_b64 s[10:11], 0
.LBB32_15:                              ;   in Loop: Header=BB32_4 Depth=1
	s_andn2_b64 vcc, exec, s[10:11]
	s_cbranch_vccnz .LBB32_17
; %bb.16:                               ;   in Loop: Header=BB32_4 Depth=1
	v_mov_b32_e32 v9, s29
	v_add_co_u32_e32 v8, vcc, s28, v25
	v_addc_co_u32_e32 v9, vcc, v9, v38, vcc
	v_mov_b32_e32 v11, s29
	v_add_co_u32_e32 v10, vcc, s28, v24
	v_addc_co_u32_e32 v11, vcc, v11, v21, vcc
	;; [unrolled: 3-line block ×3, first 2 shown]
	global_load_dwordx2 v[8:9], v[8:9], off offset:512
	s_nop 0
	global_load_dwordx2 v[10:11], v[10:11], off offset:512
	s_nop 0
	global_load_dwordx2 v[12:13], v[12:13], off offset:512
	v_mov_b32_e32 v15, s29
	v_add_co_u32_e32 v14, vcc, s28, v22
	v_addc_co_u32_e32 v15, vcc, v15, v36, vcc
	global_load_dwordx2 v[14:15], v[14:15], off offset:512
	v_add_co_u32_e32 v39, vcc, 1, v2
	v_addc_co_u32_e32 v40, vcc, 0, v3, vcc
	s_waitcnt vmcnt(3)
	v_cmp_neq_f32_e32 vcc, 0, v8
	v_cmp_neq_f32_e64 s[10:11], 0, v9
	s_or_b64 vcc, vcc, s[10:11]
	v_cndmask_b32_e32 v2, v2, v39, vcc
	v_cndmask_b32_e32 v3, v3, v40, vcc
	v_add_co_u32_e32 v8, vcc, 1, v2
	s_waitcnt vmcnt(2)
	v_cmp_neq_f32_e64 s[12:13], 0, v10
	v_cmp_neq_f32_e64 s[14:15], 0, v11
	v_addc_co_u32_e32 v9, vcc, 0, v3, vcc
	s_or_b64 vcc, s[12:13], s[14:15]
	v_cndmask_b32_e32 v2, v2, v8, vcc
	v_cndmask_b32_e32 v3, v3, v9, vcc
	v_add_co_u32_e32 v8, vcc, 1, v2
	s_waitcnt vmcnt(1)
	v_cmp_neq_f32_e64 s[16:17], 0, v12
	v_cmp_neq_f32_e64 s[18:19], 0, v13
	v_addc_co_u32_e32 v9, vcc, 0, v3, vcc
	s_or_b64 vcc, s[16:17], s[18:19]
	;; [unrolled: 8-line block ×3, first 2 shown]
	v_cndmask_b32_e32 v3, v3, v9, vcc
	v_cndmask_b32_e32 v2, v2, v8, vcc
	v_mov_b32_e32 v15, v7
	v_mov_b32_e32 v14, v6
	;; [unrolled: 1-line block ×8, first 2 shown]
.LBB32_17:                              ;   in Loop: Header=BB32_4 Depth=1
	v_mov_b32_e32 v0, v8
	v_mov_b32_e32 v1, v9
	;; [unrolled: 1-line block ×8, first 2 shown]
	s_or_b64 exec, exec, s[48:49]
	s_and_saveexec_b64 s[48:49], s[0:1]
	s_cbranch_execz .LBB32_7
.LBB32_18:                              ;   in Loop: Header=BB32_4 Depth=1
	s_and_b64 vcc, exec, s[8:9]
	s_mov_b64 s[10:11], -1
                                        ; implicit-def: $vgpr8_vgpr9_vgpr10_vgpr11_vgpr12_vgpr13_vgpr14_vgpr15
	s_cbranch_vccnz .LBB32_20
; %bb.19:                               ;   in Loop: Header=BB32_4 Depth=1
	v_mov_b32_e32 v9, s29
	v_add_co_u32_e32 v8, vcc, s28, v32
	v_addc_co_u32_e32 v9, vcc, v9, v33, vcc
	global_load_dwordx4 v[39:42], v[8:9], off
	global_load_dwordx4 v[43:46], v[8:9], off offset:16
	v_add_co_u32_e32 v12, vcc, 1, v4
	v_addc_co_u32_e32 v13, vcc, 0, v5, vcc
	v_mov_b32_e32 v8, v0
	v_mov_b32_e32 v9, v1
	;; [unrolled: 1-line block ×6, first 2 shown]
	s_waitcnt vmcnt(1)
	v_cmp_neq_f32_e32 vcc, 0, v39
	v_cmp_neq_f32_e64 s[10:11], 0, v40
	s_or_b64 vcc, vcc, s[10:11]
	v_cndmask_b32_e32 v12, v4, v12, vcc
	v_cndmask_b32_e32 v13, v5, v13, vcc
	v_add_co_u32_e32 v39, vcc, 1, v12
	v_cmp_neq_f32_e64 s[12:13], 0, v41
	v_cmp_neq_f32_e64 s[14:15], 0, v42
	v_addc_co_u32_e32 v40, vcc, 0, v13, vcc
	s_or_b64 vcc, s[12:13], s[14:15]
	v_cndmask_b32_e32 v12, v12, v39, vcc
	v_cndmask_b32_e32 v13, v13, v40, vcc
	v_add_co_u32_e32 v39, vcc, 1, v12
	s_waitcnt vmcnt(0)
	v_cmp_neq_f32_e64 s[16:17], 0, v43
	v_cmp_neq_f32_e64 s[18:19], 0, v44
	v_addc_co_u32_e32 v40, vcc, 0, v13, vcc
	s_or_b64 vcc, s[16:17], s[18:19]
	v_cndmask_b32_e32 v12, v12, v39, vcc
	v_cndmask_b32_e32 v13, v13, v40, vcc
	v_add_co_u32_e32 v39, vcc, 1, v12
	v_cmp_neq_f32_e64 s[20:21], 0, v45
	v_cmp_neq_f32_e64 s[22:23], 0, v46
	v_addc_co_u32_e32 v40, vcc, 0, v13, vcc
	s_or_b64 vcc, s[20:21], s[22:23]
	v_cndmask_b32_e32 v13, v13, v40, vcc
	v_cndmask_b32_e32 v12, v12, v39, vcc
	s_mov_b64 s[10:11], 0
.LBB32_20:                              ;   in Loop: Header=BB32_4 Depth=1
	s_andn2_b64 vcc, exec, s[10:11]
	s_cbranch_vccnz .LBB32_22
; %bb.21:                               ;   in Loop: Header=BB32_4 Depth=1
	v_mov_b32_e32 v9, s29
	v_add_co_u32_e32 v8, vcc, s28, v25
	v_addc_co_u32_e32 v9, vcc, v9, v38, vcc
	v_mov_b32_e32 v11, s29
	v_add_co_u32_e32 v10, vcc, s28, v24
	v_addc_co_u32_e32 v11, vcc, v11, v21, vcc
	;; [unrolled: 3-line block ×3, first 2 shown]
	global_load_dwordx2 v[8:9], v[8:9], off offset:1024
	s_nop 0
	global_load_dwordx2 v[10:11], v[10:11], off offset:1024
	s_nop 0
	global_load_dwordx2 v[12:13], v[12:13], off offset:1024
	v_mov_b32_e32 v15, s29
	v_add_co_u32_e32 v14, vcc, s28, v22
	v_addc_co_u32_e32 v15, vcc, v15, v36, vcc
	global_load_dwordx2 v[14:15], v[14:15], off offset:1024
	v_add_co_u32_e32 v39, vcc, 1, v4
	v_addc_co_u32_e32 v40, vcc, 0, v5, vcc
	s_waitcnt vmcnt(3)
	v_cmp_neq_f32_e32 vcc, 0, v8
	v_cmp_neq_f32_e64 s[10:11], 0, v9
	s_or_b64 vcc, vcc, s[10:11]
	v_cndmask_b32_e32 v4, v4, v39, vcc
	v_cndmask_b32_e32 v5, v5, v40, vcc
	v_add_co_u32_e32 v8, vcc, 1, v4
	s_waitcnt vmcnt(2)
	v_cmp_neq_f32_e64 s[12:13], 0, v10
	v_cmp_neq_f32_e64 s[14:15], 0, v11
	v_addc_co_u32_e32 v9, vcc, 0, v5, vcc
	s_or_b64 vcc, s[12:13], s[14:15]
	v_cndmask_b32_e32 v4, v4, v8, vcc
	v_cndmask_b32_e32 v5, v5, v9, vcc
	v_add_co_u32_e32 v8, vcc, 1, v4
	s_waitcnt vmcnt(1)
	v_cmp_neq_f32_e64 s[16:17], 0, v12
	v_cmp_neq_f32_e64 s[18:19], 0, v13
	v_addc_co_u32_e32 v9, vcc, 0, v5, vcc
	s_or_b64 vcc, s[16:17], s[18:19]
	;; [unrolled: 8-line block ×3, first 2 shown]
	v_cndmask_b32_e32 v5, v5, v9, vcc
	v_cndmask_b32_e32 v4, v4, v8, vcc
	v_mov_b32_e32 v15, v7
	v_mov_b32_e32 v14, v6
	;; [unrolled: 1-line block ×8, first 2 shown]
.LBB32_22:                              ;   in Loop: Header=BB32_4 Depth=1
	v_mov_b32_e32 v0, v8
	v_mov_b32_e32 v1, v9
	;; [unrolled: 1-line block ×8, first 2 shown]
	s_or_b64 exec, exec, s[48:49]
	s_and_saveexec_b64 s[22:23], s[2:3]
	s_cbranch_execz .LBB32_3
.LBB32_23:                              ;   in Loop: Header=BB32_4 Depth=1
	s_and_b64 vcc, exec, s[8:9]
	s_mov_b64 s[8:9], -1
                                        ; implicit-def: $vgpr8_vgpr9_vgpr10_vgpr11_vgpr12_vgpr13_vgpr14_vgpr15
	s_cbranch_vccnz .LBB32_25
; %bb.24:                               ;   in Loop: Header=BB32_4 Depth=1
	v_mov_b32_e32 v9, s29
	v_add_co_u32_e32 v8, vcc, s28, v34
	v_addc_co_u32_e32 v9, vcc, v9, v35, vcc
	global_load_dwordx4 v[39:42], v[8:9], off
	global_load_dwordx4 v[43:46], v[8:9], off offset:16
	v_add_co_u32_e32 v14, vcc, 1, v6
	v_addc_co_u32_e32 v15, vcc, 0, v7, vcc
	v_mov_b32_e32 v8, v0
	v_mov_b32_e32 v9, v1
	;; [unrolled: 1-line block ×6, first 2 shown]
	s_waitcnt vmcnt(1)
	v_cmp_neq_f32_e32 vcc, 0, v39
	v_cmp_neq_f32_e64 s[8:9], 0, v40
	s_or_b64 vcc, vcc, s[8:9]
	v_cndmask_b32_e32 v14, v6, v14, vcc
	v_cndmask_b32_e32 v15, v7, v15, vcc
	v_add_co_u32_e32 v39, vcc, 1, v14
	v_cmp_neq_f32_e64 s[10:11], 0, v41
	v_cmp_neq_f32_e64 s[12:13], 0, v42
	v_addc_co_u32_e32 v40, vcc, 0, v15, vcc
	s_or_b64 vcc, s[10:11], s[12:13]
	v_cndmask_b32_e32 v14, v14, v39, vcc
	v_cndmask_b32_e32 v15, v15, v40, vcc
	v_add_co_u32_e32 v39, vcc, 1, v14
	s_waitcnt vmcnt(0)
	v_cmp_neq_f32_e64 s[14:15], 0, v43
	v_cmp_neq_f32_e64 s[16:17], 0, v44
	v_addc_co_u32_e32 v40, vcc, 0, v15, vcc
	s_or_b64 vcc, s[14:15], s[16:17]
	v_cndmask_b32_e32 v14, v14, v39, vcc
	v_cndmask_b32_e32 v15, v15, v40, vcc
	v_add_co_u32_e32 v39, vcc, 1, v14
	v_cmp_neq_f32_e64 s[18:19], 0, v45
	v_cmp_neq_f32_e64 s[20:21], 0, v46
	v_addc_co_u32_e32 v40, vcc, 0, v15, vcc
	s_or_b64 vcc, s[18:19], s[20:21]
	v_cndmask_b32_e32 v15, v15, v40, vcc
	v_cndmask_b32_e32 v14, v14, v39, vcc
	s_mov_b64 s[8:9], 0
.LBB32_25:                              ;   in Loop: Header=BB32_4 Depth=1
	s_andn2_b64 vcc, exec, s[8:9]
	s_cbranch_vccnz .LBB32_2
; %bb.26:                               ;   in Loop: Header=BB32_4 Depth=1
	v_mov_b32_e32 v9, s29
	v_add_co_u32_e32 v8, vcc, s28, v25
	v_addc_co_u32_e32 v9, vcc, v9, v38, vcc
	v_mov_b32_e32 v11, s29
	v_add_co_u32_e32 v10, vcc, s28, v24
	v_addc_co_u32_e32 v11, vcc, v11, v21, vcc
	v_mov_b32_e32 v13, s29
	v_add_co_u32_e32 v12, vcc, s28, v23
	v_addc_co_u32_e32 v13, vcc, v13, v37, vcc
	global_load_dwordx2 v[8:9], v[8:9], off offset:1536
	s_nop 0
	global_load_dwordx2 v[10:11], v[10:11], off offset:1536
	s_nop 0
	global_load_dwordx2 v[12:13], v[12:13], off offset:1536
	v_mov_b32_e32 v15, s29
	v_add_co_u32_e32 v14, vcc, s28, v22
	v_addc_co_u32_e32 v15, vcc, v15, v36, vcc
	global_load_dwordx2 v[14:15], v[14:15], off offset:1536
	v_add_co_u32_e32 v39, vcc, 1, v6
	v_addc_co_u32_e32 v40, vcc, 0, v7, vcc
	s_waitcnt vmcnt(3)
	v_cmp_neq_f32_e32 vcc, 0, v8
	v_cmp_neq_f32_e64 s[8:9], 0, v9
	s_or_b64 vcc, vcc, s[8:9]
	v_cndmask_b32_e32 v6, v6, v39, vcc
	v_cndmask_b32_e32 v7, v7, v40, vcc
	v_add_co_u32_e32 v8, vcc, 1, v6
	s_waitcnt vmcnt(2)
	v_cmp_neq_f32_e64 s[10:11], 0, v10
	v_cmp_neq_f32_e64 s[12:13], 0, v11
	v_addc_co_u32_e32 v9, vcc, 0, v7, vcc
	s_or_b64 vcc, s[10:11], s[12:13]
	v_cndmask_b32_e32 v6, v6, v8, vcc
	v_cndmask_b32_e32 v7, v7, v9, vcc
	v_add_co_u32_e32 v8, vcc, 1, v6
	s_waitcnt vmcnt(1)
	v_cmp_neq_f32_e64 s[14:15], 0, v12
	v_cmp_neq_f32_e64 s[16:17], 0, v13
	v_addc_co_u32_e32 v9, vcc, 0, v7, vcc
	s_or_b64 vcc, s[14:15], s[16:17]
	;; [unrolled: 8-line block ×3, first 2 shown]
	v_cndmask_b32_e32 v7, v7, v9, vcc
	v_cndmask_b32_e32 v6, v6, v8, vcc
	v_mov_b32_e32 v15, v7
	v_mov_b32_e32 v14, v6
	;; [unrolled: 1-line block ×8, first 2 shown]
	s_branch .LBB32_2
.LBB32_27:
	s_or_b64 exec, exec, s[46:47]
.LBB32_28:
	s_or_b64 exec, exec, s[40:41]
	v_cmp_lt_i64_e64 s[0:1], s[36:37], 1
	s_and_b64 vcc, exec, s[0:1]
	s_cbranch_vccnz .LBB32_126
; %bb.29:
	v_lshlrev_b64 v[8:9], 3, v[16:17]
	v_mov_b32_e32 v10, s29
	v_add_co_u32_e32 v30, vcc, s28, v8
	v_addc_co_u32_e32 v31, vcc, v10, v9, vcc
	s_cmp_eq_u32 s50, 1
	s_cselect_b64 s[4:5], -1, 0
	s_cmp_lg_u32 s50, 1
	v_cmp_gt_i64_e32 vcc, s[24:25], v[18:19]
	v_lshlrev_b64 v[22:23], 3, v[18:19]
	s_cselect_b64 s[2:3], -1, 0
	s_and_saveexec_b64 s[6:7], vcc
	s_cbranch_execz .LBB32_53
; %bb.30:
	v_mad_u64_u32 v[8:9], s[0:1], v18, s30, 0
	v_cmp_gt_i64_e32 vcc, s[26:27], v[16:17]
	v_mad_u64_u32 v[9:10], s[0:1], v18, s31, v[9:10]
	v_mov_b32_e32 v10, s29
	v_lshlrev_b64 v[8:9], 3, v[8:9]
	v_add_co_u32_e64 v24, s[0:1], v30, v8
	v_addc_co_u32_e64 v25, s[0:1], v31, v9, s[0:1]
	v_add_co_u32_e64 v21, s[0:1], s28, v22
	v_addc_co_u32_e64 v32, s[0:1], v10, v23, s[0:1]
	s_and_saveexec_b64 s[8:9], vcc
	s_cbranch_execz .LBB32_34
; %bb.31:
	v_mov_b32_e32 v8, v24
	s_andn2_b64 vcc, exec, s[4:5]
	v_mov_b32_e32 v9, v25
	s_cbranch_vccnz .LBB32_33
; %bb.32:
	v_mul_lo_u32 v10, v17, s30
	v_mul_lo_u32 v11, v16, s31
	v_mad_u64_u32 v[8:9], s[0:1], v16, s30, 0
	v_add3_u32 v9, v9, v11, v10
	v_lshlrev_b64 v[8:9], 3, v[8:9]
	v_add_co_u32_e32 v8, vcc, v21, v8
	v_addc_co_u32_e32 v9, vcc, v32, v9, vcc
.LBB32_33:
	global_load_dwordx2 v[8:9], v[8:9], off
	s_waitcnt vmcnt(0)
	v_cmp_neq_f32_e32 vcc, 0, v8
	v_cmp_neq_f32_e64 s[0:1], 0, v9
	s_or_b64 s[0:1], vcc, s[0:1]
	v_cndmask_b32_e64 v8, 0, 1, s[0:1]
	v_add_co_u32_e32 v0, vcc, v0, v8
	v_addc_co_u32_e32 v1, vcc, 0, v1, vcc
.LBB32_34:
	s_or_b64 exec, exec, s[8:9]
	v_or_b32_e32 v26, 1, v16
	v_mov_b32_e32 v27, v17
	v_cmp_gt_i64_e32 vcc, s[26:27], v[26:27]
	s_and_saveexec_b64 s[8:9], vcc
	s_cbranch_execz .LBB32_40
; %bb.35:
	s_andn2_b64 vcc, exec, s[2:3]
	s_cbranch_vccnz .LBB32_37
; %bb.36:
	global_load_dwordx2 v[33:34], v[24:25], off offset:8
	v_mov_b32_e32 v15, v7
	v_mov_b32_e32 v8, v0
	v_mov_b32_e32 v9, v1
	v_mov_b32_e32 v14, v6
	v_mov_b32_e32 v13, v5
	v_mov_b32_e32 v12, v4
	v_mov_b32_e32 v11, v3
	v_mov_b32_e32 v10, v2
	s_waitcnt vmcnt(0)
	v_cmp_neq_f32_e32 vcc, 0, v33
	v_cmp_neq_f32_e64 s[0:1], 0, v34
	s_or_b64 s[0:1], vcc, s[0:1]
	v_cndmask_b32_e64 v8, 0, 1, s[0:1]
	v_add_co_u32_e32 v8, vcc, v0, v8
	v_addc_co_u32_e32 v9, vcc, 0, v1, vcc
	s_cbranch_execz .LBB32_38
	s_branch .LBB32_39
.LBB32_37:
                                        ; implicit-def: $vgpr8_vgpr9_vgpr10_vgpr11_vgpr12_vgpr13_vgpr14_vgpr15
.LBB32_38:
	v_mul_lo_u32 v10, v27, s30
	v_mul_lo_u32 v11, v26, s31
	v_mad_u64_u32 v[8:9], s[0:1], v26, s30, 0
	v_add3_u32 v9, v9, v11, v10
	v_lshlrev_b64 v[8:9], 3, v[8:9]
	v_add_co_u32_e32 v8, vcc, v21, v8
	v_addc_co_u32_e32 v9, vcc, v32, v9, vcc
	global_load_dwordx2 v[8:9], v[8:9], off
	s_waitcnt vmcnt(0)
	v_cmp_neq_f32_e32 vcc, 0, v8
	v_cmp_neq_f32_e64 s[0:1], 0, v9
	s_or_b64 s[0:1], vcc, s[0:1]
	v_cndmask_b32_e64 v8, 0, 1, s[0:1]
	v_add_co_u32_e32 v0, vcc, v0, v8
	v_addc_co_u32_e32 v1, vcc, 0, v1, vcc
	v_mov_b32_e32 v15, v7
	v_mov_b32_e32 v14, v6
	v_mov_b32_e32 v13, v5
	v_mov_b32_e32 v12, v4
	v_mov_b32_e32 v11, v3
	v_mov_b32_e32 v10, v2
	v_mov_b32_e32 v9, v1
	v_mov_b32_e32 v8, v0
.LBB32_39:
	v_mov_b32_e32 v0, v8
	v_mov_b32_e32 v1, v9
	v_mov_b32_e32 v2, v10
	v_mov_b32_e32 v3, v11
	v_mov_b32_e32 v4, v12
	v_mov_b32_e32 v5, v13
	v_mov_b32_e32 v6, v14
	v_mov_b32_e32 v7, v15
.LBB32_40:
	s_or_b64 exec, exec, s[8:9]
	v_or_b32_e32 v26, 2, v16
	v_mov_b32_e32 v27, v17
	v_cmp_gt_i64_e32 vcc, s[26:27], v[26:27]
	s_and_saveexec_b64 s[8:9], vcc
	s_cbranch_execz .LBB32_46
; %bb.41:
	s_andn2_b64 vcc, exec, s[2:3]
	s_cbranch_vccnz .LBB32_43
; %bb.42:
	global_load_dwordx2 v[33:34], v[24:25], off offset:16
	v_mov_b32_e32 v15, v7
	v_mov_b32_e32 v8, v0
	v_mov_b32_e32 v9, v1
	v_mov_b32_e32 v14, v6
	v_mov_b32_e32 v13, v5
	v_mov_b32_e32 v12, v4
	v_mov_b32_e32 v11, v3
	v_mov_b32_e32 v10, v2
	s_waitcnt vmcnt(0)
	v_cmp_neq_f32_e32 vcc, 0, v33
	v_cmp_neq_f32_e64 s[0:1], 0, v34
	s_or_b64 s[0:1], vcc, s[0:1]
	v_cndmask_b32_e64 v8, 0, 1, s[0:1]
	v_add_co_u32_e32 v8, vcc, v0, v8
	v_addc_co_u32_e32 v9, vcc, 0, v1, vcc
	s_cbranch_execz .LBB32_44
	s_branch .LBB32_45
.LBB32_43:
                                        ; implicit-def: $vgpr8_vgpr9_vgpr10_vgpr11_vgpr12_vgpr13_vgpr14_vgpr15
.LBB32_44:
	v_mul_lo_u32 v10, v27, s30
	v_mul_lo_u32 v11, v26, s31
	v_mad_u64_u32 v[8:9], s[0:1], v26, s30, 0
	v_add3_u32 v9, v9, v11, v10
	v_lshlrev_b64 v[8:9], 3, v[8:9]
	v_add_co_u32_e32 v8, vcc, v21, v8
	v_addc_co_u32_e32 v9, vcc, v32, v9, vcc
	global_load_dwordx2 v[8:9], v[8:9], off
	s_waitcnt vmcnt(0)
	v_cmp_neq_f32_e32 vcc, 0, v8
	v_cmp_neq_f32_e64 s[0:1], 0, v9
	s_or_b64 s[0:1], vcc, s[0:1]
	v_cndmask_b32_e64 v8, 0, 1, s[0:1]
	v_add_co_u32_e32 v0, vcc, v0, v8
	v_addc_co_u32_e32 v1, vcc, 0, v1, vcc
	v_mov_b32_e32 v15, v7
	v_mov_b32_e32 v14, v6
	v_mov_b32_e32 v13, v5
	v_mov_b32_e32 v12, v4
	v_mov_b32_e32 v11, v3
	v_mov_b32_e32 v10, v2
	v_mov_b32_e32 v9, v1
	v_mov_b32_e32 v8, v0
.LBB32_45:
	v_mov_b32_e32 v0, v8
	v_mov_b32_e32 v1, v9
	v_mov_b32_e32 v2, v10
	v_mov_b32_e32 v3, v11
	v_mov_b32_e32 v4, v12
	v_mov_b32_e32 v5, v13
	v_mov_b32_e32 v6, v14
	v_mov_b32_e32 v7, v15
.LBB32_46:
	;; [unrolled: 64-line block ×3, first 2 shown]
	s_or_b64 exec, exec, s[8:9]
.LBB32_53:
	s_or_b64 exec, exec, s[6:7]
	v_mov_b32_e32 v21, v19
	v_cmp_gt_i64_e32 vcc, s[24:25], v[20:21]
	s_and_saveexec_b64 s[6:7], vcc
	s_cbranch_execz .LBB32_77
; %bb.54:
	v_mad_u64_u32 v[8:9], s[0:1], v20, s30, 0
	v_cmp_gt_i64_e32 vcc, s[26:27], v[16:17]
	v_mad_u64_u32 v[9:10], s[0:1], v20, s31, v[9:10]
	v_mov_b32_e32 v10, s29
	v_lshlrev_b64 v[8:9], 3, v[8:9]
	v_add_co_u32_e64 v20, s[0:1], v30, v8
	v_addc_co_u32_e64 v21, s[0:1], v31, v9, s[0:1]
	v_add_co_u32_e64 v26, s[0:1], s28, v22
	v_addc_co_u32_e64 v27, s[0:1], v10, v23, s[0:1]
	s_and_saveexec_b64 s[8:9], vcc
	s_cbranch_execz .LBB32_58
; %bb.55:
	v_mov_b32_e32 v8, v20
	s_andn2_b64 vcc, exec, s[4:5]
	v_mov_b32_e32 v9, v21
	s_cbranch_vccnz .LBB32_57
; %bb.56:
	v_mul_lo_u32 v10, v17, s30
	v_mul_lo_u32 v11, v16, s31
	v_mad_u64_u32 v[8:9], s[0:1], v16, s30, 0
	v_add3_u32 v9, v9, v11, v10
	v_lshlrev_b64 v[8:9], 3, v[8:9]
	v_add_co_u32_e32 v8, vcc, v26, v8
	v_addc_co_u32_e32 v9, vcc, v27, v9, vcc
	v_add_co_u32_e32 v8, vcc, 0x200, v8
	v_addc_co_u32_e32 v9, vcc, 0, v9, vcc
.LBB32_57:
	global_load_dwordx2 v[8:9], v[8:9], off
	s_waitcnt vmcnt(0)
	v_cmp_neq_f32_e32 vcc, 0, v8
	v_cmp_neq_f32_e64 s[0:1], 0, v9
	s_or_b64 s[0:1], vcc, s[0:1]
	v_cndmask_b32_e64 v8, 0, 1, s[0:1]
	v_add_co_u32_e32 v2, vcc, v2, v8
	v_addc_co_u32_e32 v3, vcc, 0, v3, vcc
.LBB32_58:
	s_or_b64 exec, exec, s[8:9]
	v_or_b32_e32 v24, 1, v16
	v_mov_b32_e32 v25, v17
	v_cmp_gt_i64_e32 vcc, s[26:27], v[24:25]
	s_and_saveexec_b64 s[8:9], vcc
	s_cbranch_execz .LBB32_64
; %bb.59:
	s_andn2_b64 vcc, exec, s[2:3]
	s_cbranch_vccnz .LBB32_61
; %bb.60:
	global_load_dwordx2 v[32:33], v[20:21], off offset:8
	v_mov_b32_e32 v15, v7
	v_mov_b32_e32 v10, v2
	v_mov_b32_e32 v11, v3
	v_mov_b32_e32 v14, v6
	v_mov_b32_e32 v13, v5
	v_mov_b32_e32 v12, v4
	v_mov_b32_e32 v9, v1
	v_mov_b32_e32 v8, v0
	s_waitcnt vmcnt(0)
	v_cmp_neq_f32_e32 vcc, 0, v32
	v_cmp_neq_f32_e64 s[0:1], 0, v33
	s_or_b64 s[0:1], vcc, s[0:1]
	v_cndmask_b32_e64 v10, 0, 1, s[0:1]
	v_add_co_u32_e32 v10, vcc, v2, v10
	v_addc_co_u32_e32 v11, vcc, 0, v3, vcc
	s_cbranch_execz .LBB32_62
	s_branch .LBB32_63
.LBB32_61:
                                        ; implicit-def: $vgpr8_vgpr9_vgpr10_vgpr11_vgpr12_vgpr13_vgpr14_vgpr15
.LBB32_62:
	v_mul_lo_u32 v10, v25, s30
	v_mul_lo_u32 v11, v24, s31
	v_mad_u64_u32 v[8:9], s[0:1], v24, s30, 0
	v_add3_u32 v9, v9, v11, v10
	v_lshlrev_b64 v[8:9], 3, v[8:9]
	v_add_co_u32_e32 v8, vcc, v26, v8
	v_addc_co_u32_e32 v9, vcc, v27, v9, vcc
	global_load_dwordx2 v[8:9], v[8:9], off offset:512
	s_waitcnt vmcnt(0)
	v_cmp_neq_f32_e32 vcc, 0, v8
	v_cmp_neq_f32_e64 s[0:1], 0, v9
	s_or_b64 s[0:1], vcc, s[0:1]
	v_cndmask_b32_e64 v8, 0, 1, s[0:1]
	v_add_co_u32_e32 v2, vcc, v2, v8
	v_addc_co_u32_e32 v3, vcc, 0, v3, vcc
	v_mov_b32_e32 v15, v7
	v_mov_b32_e32 v14, v6
	v_mov_b32_e32 v13, v5
	v_mov_b32_e32 v12, v4
	v_mov_b32_e32 v11, v3
	v_mov_b32_e32 v10, v2
	v_mov_b32_e32 v9, v1
	v_mov_b32_e32 v8, v0
.LBB32_63:
	v_mov_b32_e32 v0, v8
	v_mov_b32_e32 v1, v9
	v_mov_b32_e32 v2, v10
	v_mov_b32_e32 v3, v11
	v_mov_b32_e32 v4, v12
	v_mov_b32_e32 v5, v13
	v_mov_b32_e32 v6, v14
	v_mov_b32_e32 v7, v15
.LBB32_64:
	s_or_b64 exec, exec, s[8:9]
	v_or_b32_e32 v24, 2, v16
	v_mov_b32_e32 v25, v17
	v_cmp_gt_i64_e32 vcc, s[26:27], v[24:25]
	s_and_saveexec_b64 s[8:9], vcc
	s_cbranch_execz .LBB32_70
; %bb.65:
	s_andn2_b64 vcc, exec, s[2:3]
	s_cbranch_vccnz .LBB32_67
; %bb.66:
	global_load_dwordx2 v[32:33], v[20:21], off offset:16
	v_mov_b32_e32 v15, v7
	v_mov_b32_e32 v10, v2
	v_mov_b32_e32 v11, v3
	v_mov_b32_e32 v14, v6
	v_mov_b32_e32 v13, v5
	v_mov_b32_e32 v12, v4
	v_mov_b32_e32 v9, v1
	v_mov_b32_e32 v8, v0
	s_waitcnt vmcnt(0)
	v_cmp_neq_f32_e32 vcc, 0, v32
	v_cmp_neq_f32_e64 s[0:1], 0, v33
	s_or_b64 s[0:1], vcc, s[0:1]
	v_cndmask_b32_e64 v10, 0, 1, s[0:1]
	v_add_co_u32_e32 v10, vcc, v2, v10
	v_addc_co_u32_e32 v11, vcc, 0, v3, vcc
	s_cbranch_execz .LBB32_68
	s_branch .LBB32_69
.LBB32_67:
                                        ; implicit-def: $vgpr8_vgpr9_vgpr10_vgpr11_vgpr12_vgpr13_vgpr14_vgpr15
.LBB32_68:
	v_mul_lo_u32 v10, v25, s30
	v_mul_lo_u32 v11, v24, s31
	v_mad_u64_u32 v[8:9], s[0:1], v24, s30, 0
	v_add3_u32 v9, v9, v11, v10
	v_lshlrev_b64 v[8:9], 3, v[8:9]
	v_add_co_u32_e32 v8, vcc, v26, v8
	v_addc_co_u32_e32 v9, vcc, v27, v9, vcc
	global_load_dwordx2 v[8:9], v[8:9], off offset:512
	s_waitcnt vmcnt(0)
	v_cmp_neq_f32_e32 vcc, 0, v8
	v_cmp_neq_f32_e64 s[0:1], 0, v9
	s_or_b64 s[0:1], vcc, s[0:1]
	v_cndmask_b32_e64 v8, 0, 1, s[0:1]
	v_add_co_u32_e32 v2, vcc, v2, v8
	v_addc_co_u32_e32 v3, vcc, 0, v3, vcc
	v_mov_b32_e32 v15, v7
	v_mov_b32_e32 v14, v6
	v_mov_b32_e32 v13, v5
	v_mov_b32_e32 v12, v4
	v_mov_b32_e32 v11, v3
	v_mov_b32_e32 v10, v2
	v_mov_b32_e32 v9, v1
	v_mov_b32_e32 v8, v0
.LBB32_69:
	v_mov_b32_e32 v0, v8
	v_mov_b32_e32 v1, v9
	v_mov_b32_e32 v2, v10
	v_mov_b32_e32 v3, v11
	v_mov_b32_e32 v4, v12
	v_mov_b32_e32 v5, v13
	v_mov_b32_e32 v6, v14
	v_mov_b32_e32 v7, v15
.LBB32_70:
	;; [unrolled: 64-line block ×3, first 2 shown]
	s_or_b64 exec, exec, s[8:9]
.LBB32_77:
	s_or_b64 exec, exec, s[6:7]
	v_or_b32_e32 v8, 0x80, v18
	v_mov_b32_e32 v9, v19
	v_cmp_gt_i64_e32 vcc, s[24:25], v[8:9]
	s_and_saveexec_b64 s[6:7], vcc
	s_cbranch_execz .LBB32_101
; %bb.78:
	v_mad_u64_u32 v[9:10], s[0:1], v8, s30, 0
	v_cmp_gt_i64_e32 vcc, s[26:27], v[16:17]
	v_mad_u64_u32 v[10:11], s[0:1], v8, s31, v[10:11]
	v_mov_b32_e32 v11, s29
	v_lshlrev_b64 v[8:9], 3, v[9:10]
	v_add_co_u32_e64 v20, s[0:1], v30, v8
	v_addc_co_u32_e64 v21, s[0:1], v31, v9, s[0:1]
	v_add_co_u32_e64 v26, s[0:1], s28, v22
	v_addc_co_u32_e64 v27, s[0:1], v11, v23, s[0:1]
	s_and_saveexec_b64 s[8:9], vcc
	s_cbranch_execz .LBB32_82
; %bb.79:
	v_mov_b32_e32 v8, v20
	s_andn2_b64 vcc, exec, s[4:5]
	v_mov_b32_e32 v9, v21
	s_cbranch_vccnz .LBB32_81
; %bb.80:
	v_mul_lo_u32 v10, v17, s30
	v_mul_lo_u32 v11, v16, s31
	v_mad_u64_u32 v[8:9], s[0:1], v16, s30, 0
	v_add3_u32 v9, v9, v11, v10
	v_lshlrev_b64 v[8:9], 3, v[8:9]
	v_add_co_u32_e32 v8, vcc, v26, v8
	v_addc_co_u32_e32 v9, vcc, v27, v9, vcc
	v_add_co_u32_e32 v8, vcc, 0x400, v8
	v_addc_co_u32_e32 v9, vcc, 0, v9, vcc
.LBB32_81:
	global_load_dwordx2 v[8:9], v[8:9], off
	s_waitcnt vmcnt(0)
	v_cmp_neq_f32_e32 vcc, 0, v8
	v_cmp_neq_f32_e64 s[0:1], 0, v9
	s_or_b64 s[0:1], vcc, s[0:1]
	v_cndmask_b32_e64 v8, 0, 1, s[0:1]
	v_add_co_u32_e32 v4, vcc, v4, v8
	v_addc_co_u32_e32 v5, vcc, 0, v5, vcc
.LBB32_82:
	s_or_b64 exec, exec, s[8:9]
	v_or_b32_e32 v24, 1, v16
	v_mov_b32_e32 v25, v17
	v_cmp_gt_i64_e32 vcc, s[26:27], v[24:25]
	s_and_saveexec_b64 s[8:9], vcc
	s_cbranch_execz .LBB32_88
; %bb.83:
	s_andn2_b64 vcc, exec, s[2:3]
	s_cbranch_vccnz .LBB32_85
; %bb.84:
	global_load_dwordx2 v[32:33], v[20:21], off offset:8
	v_mov_b32_e32 v15, v7
	v_mov_b32_e32 v12, v4
	v_mov_b32_e32 v13, v5
	v_mov_b32_e32 v14, v6
	v_mov_b32_e32 v11, v3
	v_mov_b32_e32 v10, v2
	v_mov_b32_e32 v9, v1
	v_mov_b32_e32 v8, v0
	s_waitcnt vmcnt(0)
	v_cmp_neq_f32_e32 vcc, 0, v32
	v_cmp_neq_f32_e64 s[0:1], 0, v33
	s_or_b64 s[0:1], vcc, s[0:1]
	v_cndmask_b32_e64 v12, 0, 1, s[0:1]
	v_add_co_u32_e32 v12, vcc, v4, v12
	v_addc_co_u32_e32 v13, vcc, 0, v5, vcc
	s_cbranch_execz .LBB32_86
	s_branch .LBB32_87
.LBB32_85:
                                        ; implicit-def: $vgpr8_vgpr9_vgpr10_vgpr11_vgpr12_vgpr13_vgpr14_vgpr15
.LBB32_86:
	v_mul_lo_u32 v10, v25, s30
	v_mul_lo_u32 v11, v24, s31
	v_mad_u64_u32 v[8:9], s[0:1], v24, s30, 0
	v_add3_u32 v9, v9, v11, v10
	v_lshlrev_b64 v[8:9], 3, v[8:9]
	v_add_co_u32_e32 v8, vcc, v26, v8
	v_addc_co_u32_e32 v9, vcc, v27, v9, vcc
	global_load_dwordx2 v[8:9], v[8:9], off offset:1024
	s_waitcnt vmcnt(0)
	v_cmp_neq_f32_e32 vcc, 0, v8
	v_cmp_neq_f32_e64 s[0:1], 0, v9
	s_or_b64 s[0:1], vcc, s[0:1]
	v_cndmask_b32_e64 v8, 0, 1, s[0:1]
	v_add_co_u32_e32 v4, vcc, v4, v8
	v_addc_co_u32_e32 v5, vcc, 0, v5, vcc
	v_mov_b32_e32 v15, v7
	v_mov_b32_e32 v14, v6
	v_mov_b32_e32 v13, v5
	v_mov_b32_e32 v12, v4
	v_mov_b32_e32 v11, v3
	v_mov_b32_e32 v10, v2
	v_mov_b32_e32 v9, v1
	v_mov_b32_e32 v8, v0
.LBB32_87:
	v_mov_b32_e32 v0, v8
	v_mov_b32_e32 v1, v9
	v_mov_b32_e32 v2, v10
	v_mov_b32_e32 v3, v11
	v_mov_b32_e32 v4, v12
	v_mov_b32_e32 v5, v13
	v_mov_b32_e32 v6, v14
	v_mov_b32_e32 v7, v15
.LBB32_88:
	s_or_b64 exec, exec, s[8:9]
	v_or_b32_e32 v24, 2, v16
	v_mov_b32_e32 v25, v17
	v_cmp_gt_i64_e32 vcc, s[26:27], v[24:25]
	s_and_saveexec_b64 s[8:9], vcc
	s_cbranch_execz .LBB32_94
; %bb.89:
	s_andn2_b64 vcc, exec, s[2:3]
	s_cbranch_vccnz .LBB32_91
; %bb.90:
	global_load_dwordx2 v[32:33], v[20:21], off offset:16
	v_mov_b32_e32 v15, v7
	v_mov_b32_e32 v12, v4
	v_mov_b32_e32 v13, v5
	v_mov_b32_e32 v14, v6
	v_mov_b32_e32 v11, v3
	v_mov_b32_e32 v10, v2
	v_mov_b32_e32 v9, v1
	v_mov_b32_e32 v8, v0
	s_waitcnt vmcnt(0)
	v_cmp_neq_f32_e32 vcc, 0, v32
	v_cmp_neq_f32_e64 s[0:1], 0, v33
	s_or_b64 s[0:1], vcc, s[0:1]
	v_cndmask_b32_e64 v12, 0, 1, s[0:1]
	v_add_co_u32_e32 v12, vcc, v4, v12
	v_addc_co_u32_e32 v13, vcc, 0, v5, vcc
	s_cbranch_execz .LBB32_92
	s_branch .LBB32_93
.LBB32_91:
                                        ; implicit-def: $vgpr8_vgpr9_vgpr10_vgpr11_vgpr12_vgpr13_vgpr14_vgpr15
.LBB32_92:
	v_mul_lo_u32 v10, v25, s30
	v_mul_lo_u32 v11, v24, s31
	v_mad_u64_u32 v[8:9], s[0:1], v24, s30, 0
	v_add3_u32 v9, v9, v11, v10
	v_lshlrev_b64 v[8:9], 3, v[8:9]
	v_add_co_u32_e32 v8, vcc, v26, v8
	v_addc_co_u32_e32 v9, vcc, v27, v9, vcc
	global_load_dwordx2 v[8:9], v[8:9], off offset:1024
	s_waitcnt vmcnt(0)
	v_cmp_neq_f32_e32 vcc, 0, v8
	v_cmp_neq_f32_e64 s[0:1], 0, v9
	s_or_b64 s[0:1], vcc, s[0:1]
	v_cndmask_b32_e64 v8, 0, 1, s[0:1]
	v_add_co_u32_e32 v4, vcc, v4, v8
	v_addc_co_u32_e32 v5, vcc, 0, v5, vcc
	v_mov_b32_e32 v15, v7
	v_mov_b32_e32 v14, v6
	v_mov_b32_e32 v13, v5
	v_mov_b32_e32 v12, v4
	v_mov_b32_e32 v11, v3
	v_mov_b32_e32 v10, v2
	v_mov_b32_e32 v9, v1
	v_mov_b32_e32 v8, v0
.LBB32_93:
	v_mov_b32_e32 v0, v8
	v_mov_b32_e32 v1, v9
	v_mov_b32_e32 v2, v10
	v_mov_b32_e32 v3, v11
	v_mov_b32_e32 v4, v12
	v_mov_b32_e32 v5, v13
	v_mov_b32_e32 v6, v14
	v_mov_b32_e32 v7, v15
.LBB32_94:
	;; [unrolled: 64-line block ×3, first 2 shown]
	s_or_b64 exec, exec, s[8:9]
.LBB32_101:
	s_or_b64 exec, exec, s[6:7]
	v_or_b32_e32 v18, 0xc0, v18
	v_cmp_gt_i64_e32 vcc, s[24:25], v[18:19]
	s_and_saveexec_b64 s[6:7], vcc
	s_cbranch_execz .LBB32_125
; %bb.102:
	v_mad_u64_u32 v[8:9], s[0:1], v18, s30, 0
	v_cmp_gt_i64_e32 vcc, s[26:27], v[16:17]
	v_mad_u64_u32 v[9:10], s[0:1], v18, s31, v[9:10]
	v_mov_b32_e32 v10, s29
	v_lshlrev_b64 v[8:9], 3, v[8:9]
	v_add_co_u32_e64 v18, s[0:1], v30, v8
	v_addc_co_u32_e64 v19, s[0:1], v31, v9, s[0:1]
	v_add_co_u32_e64 v22, s[0:1], s28, v22
	v_addc_co_u32_e64 v23, s[0:1], v10, v23, s[0:1]
	s_and_saveexec_b64 s[8:9], vcc
	s_cbranch_execz .LBB32_106
; %bb.103:
	v_mov_b32_e32 v8, v18
	s_andn2_b64 vcc, exec, s[4:5]
	v_mov_b32_e32 v9, v19
	s_cbranch_vccnz .LBB32_105
; %bb.104:
	v_mul_lo_u32 v10, v17, s30
	v_mul_lo_u32 v11, v16, s31
	v_mad_u64_u32 v[8:9], s[0:1], v16, s30, 0
	v_add3_u32 v9, v9, v11, v10
	v_lshlrev_b64 v[8:9], 3, v[8:9]
	v_add_co_u32_e32 v8, vcc, v22, v8
	v_addc_co_u32_e32 v9, vcc, v23, v9, vcc
	v_add_co_u32_e32 v8, vcc, 0x600, v8
	v_addc_co_u32_e32 v9, vcc, 0, v9, vcc
.LBB32_105:
	global_load_dwordx2 v[8:9], v[8:9], off
	s_waitcnt vmcnt(0)
	v_cmp_neq_f32_e32 vcc, 0, v8
	v_cmp_neq_f32_e64 s[0:1], 0, v9
	s_or_b64 s[0:1], vcc, s[0:1]
	v_cndmask_b32_e64 v8, 0, 1, s[0:1]
	v_add_co_u32_e32 v6, vcc, v6, v8
	v_addc_co_u32_e32 v7, vcc, 0, v7, vcc
.LBB32_106:
	s_or_b64 exec, exec, s[8:9]
	v_or_b32_e32 v20, 1, v16
	v_mov_b32_e32 v21, v17
	v_cmp_gt_i64_e32 vcc, s[26:27], v[20:21]
	v_cndmask_b32_e64 v8, 0, 1, s[2:3]
	v_cmp_ne_u32_e64 s[0:1], 1, v8
	s_and_saveexec_b64 s[4:5], vcc
	s_cbranch_execz .LBB32_112
; %bb.107:
	s_and_b64 vcc, exec, s[0:1]
	s_cbranch_vccnz .LBB32_109
; %bb.108:
	global_load_dwordx2 v[24:25], v[18:19], off offset:8
	v_mov_b32_e32 v15, v7
	v_mov_b32_e32 v14, v6
	;; [unrolled: 1-line block ×8, first 2 shown]
	s_waitcnt vmcnt(0)
	v_cmp_neq_f32_e32 vcc, 0, v24
	v_cmp_neq_f32_e64 s[2:3], 0, v25
	s_or_b64 s[2:3], vcc, s[2:3]
	v_cndmask_b32_e64 v14, 0, 1, s[2:3]
	v_add_co_u32_e32 v14, vcc, v6, v14
	v_addc_co_u32_e32 v15, vcc, 0, v7, vcc
	s_cbranch_execz .LBB32_110
	s_branch .LBB32_111
.LBB32_109:
                                        ; implicit-def: $vgpr8_vgpr9_vgpr10_vgpr11_vgpr12_vgpr13_vgpr14_vgpr15
.LBB32_110:
	v_mul_lo_u32 v10, v21, s30
	v_mul_lo_u32 v11, v20, s31
	v_mad_u64_u32 v[8:9], s[2:3], v20, s30, 0
	v_add3_u32 v9, v9, v11, v10
	v_lshlrev_b64 v[8:9], 3, v[8:9]
	v_add_co_u32_e32 v8, vcc, v22, v8
	v_addc_co_u32_e32 v9, vcc, v23, v9, vcc
	global_load_dwordx2 v[8:9], v[8:9], off offset:1536
	s_waitcnt vmcnt(0)
	v_cmp_neq_f32_e32 vcc, 0, v8
	v_cmp_neq_f32_e64 s[2:3], 0, v9
	s_or_b64 s[2:3], vcc, s[2:3]
	v_cndmask_b32_e64 v8, 0, 1, s[2:3]
	v_add_co_u32_e32 v6, vcc, v6, v8
	v_addc_co_u32_e32 v7, vcc, 0, v7, vcc
	v_mov_b32_e32 v15, v7
	v_mov_b32_e32 v14, v6
	;; [unrolled: 1-line block ×8, first 2 shown]
.LBB32_111:
	v_mov_b32_e32 v0, v8
	v_mov_b32_e32 v1, v9
	;; [unrolled: 1-line block ×8, first 2 shown]
.LBB32_112:
	s_or_b64 exec, exec, s[4:5]
	v_or_b32_e32 v20, 2, v16
	v_mov_b32_e32 v21, v17
	v_cmp_gt_i64_e32 vcc, s[26:27], v[20:21]
	s_and_saveexec_b64 s[4:5], vcc
	s_cbranch_execz .LBB32_118
; %bb.113:
	s_and_b64 vcc, exec, s[0:1]
	s_cbranch_vccnz .LBB32_115
; %bb.114:
	global_load_dwordx2 v[24:25], v[18:19], off offset:16
	v_mov_b32_e32 v15, v7
	v_mov_b32_e32 v14, v6
	;; [unrolled: 1-line block ×8, first 2 shown]
	s_waitcnt vmcnt(0)
	v_cmp_neq_f32_e32 vcc, 0, v24
	v_cmp_neq_f32_e64 s[2:3], 0, v25
	s_or_b64 s[2:3], vcc, s[2:3]
	v_cndmask_b32_e64 v14, 0, 1, s[2:3]
	v_add_co_u32_e32 v14, vcc, v6, v14
	v_addc_co_u32_e32 v15, vcc, 0, v7, vcc
	s_cbranch_execz .LBB32_116
	s_branch .LBB32_117
.LBB32_115:
                                        ; implicit-def: $vgpr8_vgpr9_vgpr10_vgpr11_vgpr12_vgpr13_vgpr14_vgpr15
.LBB32_116:
	v_mul_lo_u32 v10, v21, s30
	v_mul_lo_u32 v11, v20, s31
	v_mad_u64_u32 v[8:9], s[2:3], v20, s30, 0
	v_add3_u32 v9, v9, v11, v10
	v_lshlrev_b64 v[8:9], 3, v[8:9]
	v_add_co_u32_e32 v8, vcc, v22, v8
	v_addc_co_u32_e32 v9, vcc, v23, v9, vcc
	global_load_dwordx2 v[8:9], v[8:9], off offset:1536
	s_waitcnt vmcnt(0)
	v_cmp_neq_f32_e32 vcc, 0, v8
	v_cmp_neq_f32_e64 s[2:3], 0, v9
	s_or_b64 s[2:3], vcc, s[2:3]
	v_cndmask_b32_e64 v8, 0, 1, s[2:3]
	v_add_co_u32_e32 v6, vcc, v6, v8
	v_addc_co_u32_e32 v7, vcc, 0, v7, vcc
	v_mov_b32_e32 v15, v7
	v_mov_b32_e32 v14, v6
	;; [unrolled: 1-line block ×8, first 2 shown]
.LBB32_117:
	v_mov_b32_e32 v0, v8
	v_mov_b32_e32 v1, v9
	;; [unrolled: 1-line block ×8, first 2 shown]
.LBB32_118:
	s_or_b64 exec, exec, s[4:5]
	v_or_b32_e32 v16, 3, v16
	v_cmp_gt_i64_e32 vcc, s[26:27], v[16:17]
	s_and_saveexec_b64 s[2:3], vcc
	s_cbranch_execz .LBB32_124
; %bb.119:
	s_and_b64 vcc, exec, s[0:1]
	s_cbranch_vccnz .LBB32_121
; %bb.120:
	global_load_dwordx2 v[18:19], v[18:19], off offset:24
	v_mov_b32_e32 v15, v7
	v_mov_b32_e32 v14, v6
	;; [unrolled: 1-line block ×8, first 2 shown]
	s_waitcnt vmcnt(0)
	v_cmp_neq_f32_e32 vcc, 0, v18
	v_cmp_neq_f32_e64 s[0:1], 0, v19
	s_or_b64 s[0:1], vcc, s[0:1]
	v_cndmask_b32_e64 v14, 0, 1, s[0:1]
	v_add_co_u32_e32 v14, vcc, v6, v14
	v_addc_co_u32_e32 v15, vcc, 0, v7, vcc
	s_cbranch_execz .LBB32_122
	s_branch .LBB32_123
.LBB32_121:
                                        ; implicit-def: $vgpr8_vgpr9_vgpr10_vgpr11_vgpr12_vgpr13_vgpr14_vgpr15
.LBB32_122:
	v_mul_lo_u32 v10, v17, s30
	v_mul_lo_u32 v11, v16, s31
	v_mad_u64_u32 v[8:9], s[0:1], v16, s30, 0
	v_add3_u32 v9, v9, v11, v10
	v_lshlrev_b64 v[8:9], 3, v[8:9]
	v_add_co_u32_e32 v8, vcc, v22, v8
	v_addc_co_u32_e32 v9, vcc, v23, v9, vcc
	global_load_dwordx2 v[8:9], v[8:9], off offset:1536
	s_waitcnt vmcnt(0)
	v_cmp_neq_f32_e32 vcc, 0, v8
	v_cmp_neq_f32_e64 s[0:1], 0, v9
	s_or_b64 s[0:1], vcc, s[0:1]
	v_cndmask_b32_e64 v8, 0, 1, s[0:1]
	v_add_co_u32_e32 v6, vcc, v6, v8
	v_addc_co_u32_e32 v7, vcc, 0, v7, vcc
	v_mov_b32_e32 v15, v7
	v_mov_b32_e32 v14, v6
	;; [unrolled: 1-line block ×8, first 2 shown]
.LBB32_123:
	v_mov_b32_e32 v0, v8
	v_mov_b32_e32 v1, v9
	;; [unrolled: 1-line block ×8, first 2 shown]
.LBB32_124:
	s_or_b64 exec, exec, s[2:3]
.LBB32_125:
	s_or_b64 exec, exec, s[6:7]
.LBB32_126:
	v_lshlrev_b32_e32 v8, 5, v28
	v_lshlrev_b32_e32 v9, 3, v29
	s_movk_i32 s0, 0xf800
	v_and_or_b32 v8, v8, s0, v9
	s_movk_i32 s0, 0x100
	v_cmp_gt_u32_e32 vcc, s0, v28
	ds_write2st64_b64 v8, v[0:1], v[2:3] offset1:1
	ds_write2st64_b64 v8, v[4:5], v[6:7] offset0:2 offset1:3
	s_waitcnt lgkmcnt(0)
	s_barrier
	s_and_saveexec_b64 s[0:1], vcc
	s_cbranch_execz .LBB32_129
; %bb.127:
	v_lshlrev_b32_e32 v10, 3, v28
	ds_read2st64_b64 v[2:5], v10 offset1:4
	ds_read2st64_b64 v[6:9], v10 offset0:8 offset1:12
	v_add_co_u32_e32 v0, vcc, s33, v28
	v_addc_co_u32_e64 v1, s[0:1], 0, 0, vcc
	s_waitcnt lgkmcnt(1)
	v_add_co_u32_e32 v2, vcc, v2, v4
	v_addc_co_u32_e32 v3, vcc, v3, v5, vcc
	s_waitcnt lgkmcnt(0)
	v_add_co_u32_e32 v6, vcc, v2, v6
	v_addc_co_u32_e32 v7, vcc, v3, v7, vcc
	ds_read2st64_b64 v[2:5], v10 offset0:16 offset1:20
	v_add_co_u32_e32 v6, vcc, v6, v8
	v_addc_co_u32_e32 v7, vcc, v7, v9, vcc
	s_waitcnt lgkmcnt(0)
	v_add_co_u32_e32 v2, vcc, v6, v2
	v_addc_co_u32_e32 v3, vcc, v7, v3, vcc
	ds_read2st64_b64 v[6:9], v10 offset0:24 offset1:28
	;; [unrolled: 6-line block ×6, first 2 shown]
	v_add_co_u32_e32 v2, vcc, v2, v4
	v_addc_co_u32_e32 v3, vcc, v3, v5, vcc
	s_waitcnt lgkmcnt(0)
	v_add_co_u32_e32 v2, vcc, v2, v6
	v_addc_co_u32_e32 v3, vcc, v3, v7, vcc
	v_add_co_u32_e32 v2, vcc, v2, v8
	v_addc_co_u32_e32 v3, vcc, v3, v9, vcc
	v_cmp_gt_i64_e32 vcc, s[24:25], v[0:1]
	ds_write_b64 v10, v[2:3]
	s_and_b64 exec, exec, vcc
	s_cbranch_execz .LBB32_129
; %bb.128:
	v_lshlrev_b64 v[0:1], 3, v[0:1]
	v_mov_b32_e32 v4, s35
	v_add_co_u32_e32 v0, vcc, s34, v0
	v_addc_co_u32_e32 v1, vcc, v4, v1, vcc
	global_store_dwordx2 v[0:1], v[2:3], off
.LBB32_129:
	s_endpgm
	.section	.rodata,"a",@progbits
	.p2align	6, 0x0
	.amdhsa_kernel _ZN9rocsparseL14nnz_kernel_rowILi64ELi16Ell21rocsparse_complex_numIfEEEv16rocsparse_order_T2_S4_PKT3_lPT1_
		.amdhsa_group_segment_fixed_size 32768
		.amdhsa_private_segment_fixed_size 0
		.amdhsa_kernarg_size 304
		.amdhsa_user_sgpr_count 6
		.amdhsa_user_sgpr_private_segment_buffer 1
		.amdhsa_user_sgpr_dispatch_ptr 0
		.amdhsa_user_sgpr_queue_ptr 0
		.amdhsa_user_sgpr_kernarg_segment_ptr 1
		.amdhsa_user_sgpr_dispatch_id 0
		.amdhsa_user_sgpr_flat_scratch_init 0
		.amdhsa_user_sgpr_private_segment_size 0
		.amdhsa_uses_dynamic_stack 0
		.amdhsa_system_sgpr_private_segment_wavefront_offset 0
		.amdhsa_system_sgpr_workgroup_id_x 1
		.amdhsa_system_sgpr_workgroup_id_y 0
		.amdhsa_system_sgpr_workgroup_id_z 0
		.amdhsa_system_sgpr_workgroup_info 0
		.amdhsa_system_vgpr_workitem_id 1
		.amdhsa_next_free_vgpr 47
		.amdhsa_next_free_sgpr 61
		.amdhsa_reserve_vcc 1
		.amdhsa_reserve_flat_scratch 0
		.amdhsa_float_round_mode_32 0
		.amdhsa_float_round_mode_16_64 0
		.amdhsa_float_denorm_mode_32 3
		.amdhsa_float_denorm_mode_16_64 3
		.amdhsa_dx10_clamp 1
		.amdhsa_ieee_mode 1
		.amdhsa_fp16_overflow 0
		.amdhsa_exception_fp_ieee_invalid_op 0
		.amdhsa_exception_fp_denorm_src 0
		.amdhsa_exception_fp_ieee_div_zero 0
		.amdhsa_exception_fp_ieee_overflow 0
		.amdhsa_exception_fp_ieee_underflow 0
		.amdhsa_exception_fp_ieee_inexact 0
		.amdhsa_exception_int_div_zero 0
	.end_amdhsa_kernel
	.section	.text._ZN9rocsparseL14nnz_kernel_rowILi64ELi16Ell21rocsparse_complex_numIfEEEv16rocsparse_order_T2_S4_PKT3_lPT1_,"axG",@progbits,_ZN9rocsparseL14nnz_kernel_rowILi64ELi16Ell21rocsparse_complex_numIfEEEv16rocsparse_order_T2_S4_PKT3_lPT1_,comdat
.Lfunc_end32:
	.size	_ZN9rocsparseL14nnz_kernel_rowILi64ELi16Ell21rocsparse_complex_numIfEEEv16rocsparse_order_T2_S4_PKT3_lPT1_, .Lfunc_end32-_ZN9rocsparseL14nnz_kernel_rowILi64ELi16Ell21rocsparse_complex_numIfEEEv16rocsparse_order_T2_S4_PKT3_lPT1_
                                        ; -- End function
	.set _ZN9rocsparseL14nnz_kernel_rowILi64ELi16Ell21rocsparse_complex_numIfEEEv16rocsparse_order_T2_S4_PKT3_lPT1_.num_vgpr, 47
	.set _ZN9rocsparseL14nnz_kernel_rowILi64ELi16Ell21rocsparse_complex_numIfEEEv16rocsparse_order_T2_S4_PKT3_lPT1_.num_agpr, 0
	.set _ZN9rocsparseL14nnz_kernel_rowILi64ELi16Ell21rocsparse_complex_numIfEEEv16rocsparse_order_T2_S4_PKT3_lPT1_.numbered_sgpr, 51
	.set _ZN9rocsparseL14nnz_kernel_rowILi64ELi16Ell21rocsparse_complex_numIfEEEv16rocsparse_order_T2_S4_PKT3_lPT1_.num_named_barrier, 0
	.set _ZN9rocsparseL14nnz_kernel_rowILi64ELi16Ell21rocsparse_complex_numIfEEEv16rocsparse_order_T2_S4_PKT3_lPT1_.private_seg_size, 0
	.set _ZN9rocsparseL14nnz_kernel_rowILi64ELi16Ell21rocsparse_complex_numIfEEEv16rocsparse_order_T2_S4_PKT3_lPT1_.uses_vcc, 1
	.set _ZN9rocsparseL14nnz_kernel_rowILi64ELi16Ell21rocsparse_complex_numIfEEEv16rocsparse_order_T2_S4_PKT3_lPT1_.uses_flat_scratch, 0
	.set _ZN9rocsparseL14nnz_kernel_rowILi64ELi16Ell21rocsparse_complex_numIfEEEv16rocsparse_order_T2_S4_PKT3_lPT1_.has_dyn_sized_stack, 0
	.set _ZN9rocsparseL14nnz_kernel_rowILi64ELi16Ell21rocsparse_complex_numIfEEEv16rocsparse_order_T2_S4_PKT3_lPT1_.has_recursion, 0
	.set _ZN9rocsparseL14nnz_kernel_rowILi64ELi16Ell21rocsparse_complex_numIfEEEv16rocsparse_order_T2_S4_PKT3_lPT1_.has_indirect_call, 0
	.section	.AMDGPU.csdata,"",@progbits
; Kernel info:
; codeLenInByte = 7572
; TotalNumSgprs: 55
; NumVgprs: 47
; ScratchSize: 0
; MemoryBound: 0
; FloatMode: 240
; IeeeMode: 1
; LDSByteSize: 32768 bytes/workgroup (compile time only)
; SGPRBlocks: 8
; VGPRBlocks: 11
; NumSGPRsForWavesPerEU: 65
; NumVGPRsForWavesPerEU: 47
; Occupancy: 5
; WaveLimiterHint : 0
; COMPUTE_PGM_RSRC2:SCRATCH_EN: 0
; COMPUTE_PGM_RSRC2:USER_SGPR: 6
; COMPUTE_PGM_RSRC2:TRAP_HANDLER: 0
; COMPUTE_PGM_RSRC2:TGID_X_EN: 1
; COMPUTE_PGM_RSRC2:TGID_Y_EN: 0
; COMPUTE_PGM_RSRC2:TGID_Z_EN: 0
; COMPUTE_PGM_RSRC2:TIDIG_COMP_CNT: 1
	.section	.text._ZN9rocsparseL14nnz_kernel_colILi256Ell21rocsparse_complex_numIfEEEv16rocsparse_order_T1_S4_PKT2_lPT0_,"axG",@progbits,_ZN9rocsparseL14nnz_kernel_colILi256Ell21rocsparse_complex_numIfEEEv16rocsparse_order_T1_S4_PKT2_lPT0_,comdat
	.globl	_ZN9rocsparseL14nnz_kernel_colILi256Ell21rocsparse_complex_numIfEEEv16rocsparse_order_T1_S4_PKT2_lPT0_ ; -- Begin function _ZN9rocsparseL14nnz_kernel_colILi256Ell21rocsparse_complex_numIfEEEv16rocsparse_order_T1_S4_PKT2_lPT0_
	.p2align	8
	.type	_ZN9rocsparseL14nnz_kernel_colILi256Ell21rocsparse_complex_numIfEEEv16rocsparse_order_T1_S4_PKT2_lPT0_,@function
_ZN9rocsparseL14nnz_kernel_colILi256Ell21rocsparse_complex_numIfEEEv16rocsparse_order_T1_S4_PKT2_lPT0_: ; @_ZN9rocsparseL14nnz_kernel_colILi256Ell21rocsparse_complex_numIfEEEv16rocsparse_order_T1_S4_PKT2_lPT0_
; %bb.0:
	s_load_dwordx2 s[2:3], s[4:5], 0x8
	s_load_dword s0, s[4:5], 0x0
	s_load_dwordx4 s[8:11], s[4:5], 0x18
	s_mov_b32 s7, 0
	v_mov_b32_e32 v1, 0
	s_waitcnt lgkmcnt(0)
	s_ashr_i32 s1, s3, 31
	s_lshr_b32 s1, s1, 24
	s_add_u32 s1, s2, s1
	s_addc_u32 s13, s3, 0
	s_and_b32 s12, s1, 0xffffff00
	s_cmp_eq_u32 s0, 1
	s_cbranch_scc1 .LBB33_6
; %bb.1:
	v_mov_b32_e32 v2, 0x100
	v_mov_b32_e32 v3, 0
	v_cmp_lt_i64_e32 vcc, s[2:3], v[2:3]
	v_mov_b32_e32 v2, 0
	v_mov_b32_e32 v3, 0
	s_cbranch_vccnz .LBB33_7
; %bb.2:
	v_mad_u64_u32 v[2:3], s[0:1], s10, v0, 0
	s_lshl_b64 s[0:1], s[6:7], 3
	s_add_u32 s0, s8, s0
	v_mad_u64_u32 v[3:4], s[14:15], s11, v0, v[3:4]
	s_addc_u32 s1, s9, s1
	v_mov_b32_e32 v4, s1
	v_lshlrev_b64 v[2:3], 3, v[2:3]
	s_lshl_b64 s[14:15], s[10:11], 11
	v_add_co_u32_e32 v2, vcc, s0, v2
	v_addc_co_u32_e32 v3, vcc, v4, v3, vcc
	v_add_co_u32_e32 v4, vcc, 4, v2
	v_addc_co_u32_e32 v5, vcc, 0, v3, vcc
	v_mov_b32_e32 v2, 0
	v_mov_b32_e32 v6, s12
	s_mov_b64 s[16:17], 0
	v_mov_b32_e32 v3, 0
	v_mov_b32_e32 v8, s15
	;; [unrolled: 1-line block ×3, first 2 shown]
	s_branch .LBB33_4
.LBB33_3:                               ;   in Loop: Header=BB33_4 Depth=1
	s_or_b64 exec, exec, s[18:19]
	s_add_u32 s16, s16, 0x100
	s_addc_u32 s17, s17, 0
	v_cmp_ge_i64_e32 vcc, s[16:17], v[6:7]
	v_add_co_u32_e64 v4, s[0:1], s14, v4
	v_addc_co_u32_e64 v5, s[0:1], v5, v8, s[0:1]
	s_cbranch_vccnz .LBB33_7
.LBB33_4:                               ; =>This Inner Loop Header: Depth=1
	v_mov_b32_e32 v10, s17
	v_add_co_u32_e32 v9, vcc, s16, v0
	v_addc_co_u32_e32 v10, vcc, 0, v10, vcc
	v_cmp_gt_i64_e32 vcc, s[2:3], v[9:10]
	s_and_saveexec_b64 s[18:19], vcc
	s_cbranch_execz .LBB33_3
; %bb.5:                                ;   in Loop: Header=BB33_4 Depth=1
	global_load_dwordx2 v[9:10], v[4:5], off offset:-4
	s_waitcnt vmcnt(0)
	v_cmp_neq_f32_e32 vcc, 0, v9
	v_cmp_neq_f32_e64 s[0:1], 0, v10
	s_or_b64 s[0:1], vcc, s[0:1]
	v_cndmask_b32_e64 v9, 0, 1, s[0:1]
	v_add_co_u32_e32 v2, vcc, v2, v9
	v_addc_co_u32_e32 v3, vcc, 0, v3, vcc
	s_branch .LBB33_3
.LBB33_6:
	s_mov_b64 s[14:15], 0
                                        ; implicit-def: $vgpr2_vgpr3
                                        ; implicit-def: $vgpr6_vgpr7
	s_cbranch_execnz .LBB33_10
	s_branch .LBB33_16
.LBB33_7:
	v_mov_b32_e32 v5, s13
	v_add_co_u32_e32 v4, vcc, s12, v0
	v_addc_co_u32_e32 v5, vcc, 0, v5, vcc
	v_cmp_gt_i64_e32 vcc, s[2:3], v[4:5]
	s_mov_b64 s[0:1], 0
	s_mov_b64 s[14:15], 0
                                        ; implicit-def: $vgpr6_vgpr7
	s_and_saveexec_b64 s[16:17], vcc
	s_xor_b64 s[16:17], exec, s[16:17]
	s_cbranch_execz .LBB33_9
; %bb.8:
	v_mul_lo_u32 v6, v5, s10
	v_mul_lo_u32 v7, v4, s11
	v_mad_u64_u32 v[4:5], s[18:19], v4, s10, 0
	s_lshl_b64 s[18:19], s[6:7], 3
	s_mov_b64 s[14:15], exec
	v_add3_u32 v5, v5, v7, v6
	v_lshlrev_b64 v[4:5], 3, v[4:5]
	v_mov_b32_e32 v6, s9
	v_add_co_u32_e32 v4, vcc, s8, v4
	v_addc_co_u32_e32 v5, vcc, v6, v5, vcc
	v_mov_b32_e32 v7, s19
	v_add_co_u32_e32 v6, vcc, s18, v4
	v_addc_co_u32_e32 v7, vcc, v5, v7, vcc
.LBB33_9:
	s_or_b64 exec, exec, s[16:17]
	s_and_b64 vcc, exec, s[0:1]
	s_cbranch_vccz .LBB33_16
.LBB33_10:
	v_mov_b32_e32 v2, 0x100
	v_cmp_gt_i64_e32 vcc, s[2:3], v[0:1]
	v_mov_b32_e32 v3, 0
	v_mov_b32_e32 v5, 0
	v_cndmask_b32_e32 v4, 0, v0, vcc
	v_cmp_lt_i64_e32 vcc, s[2:3], v[2:3]
	s_mul_i32 s0, s11, s6
	s_mul_hi_u32 s1, s10, s6
	v_mov_b32_e32 v2, 0
	v_lshlrev_b64 v[4:5], 3, v[4:5]
	s_add_i32 s11, s1, s0
	s_mul_i32 s10, s10, s6
	v_mov_b32_e32 v3, 0
	s_cbranch_vccnz .LBB33_13
; %bb.11:
	s_lshl_b64 s[0:1], s[10:11], 3
	s_add_u32 s0, s8, s0
	s_addc_u32 s1, s9, s1
	v_mov_b32_e32 v1, s1
	v_add_co_u32_e32 v2, vcc, s0, v4
	v_addc_co_u32_e32 v1, vcc, v1, v5, vcc
	v_add_co_u32_e32 v6, vcc, 4, v2
	v_mov_b32_e32 v2, 0
	v_mov_b32_e32 v8, s12
	v_addc_co_u32_e32 v7, vcc, 0, v1, vcc
	s_mov_b64 s[16:17], 0
	v_mov_b32_e32 v3, 0
	v_mov_b32_e32 v9, s13
.LBB33_12:                              ; =>This Inner Loop Header: Depth=1
	global_load_dwordx2 v[10:11], v[6:7], off offset:-4
	v_add_co_u32_e32 v6, vcc, 0x800, v6
	v_addc_co_u32_e32 v7, vcc, 0, v7, vcc
	s_waitcnt vmcnt(0)
	v_cmp_neq_f32_e32 vcc, 0, v10
	v_cmp_neq_f32_e64 s[0:1], 0, v11
	s_or_b64 s[0:1], vcc, s[0:1]
	s_add_u32 s16, s16, 0x100
	v_cndmask_b32_e64 v1, 0, 1, s[0:1]
	s_addc_u32 s17, s17, 0
	v_add_co_u32_e32 v2, vcc, v2, v1
	v_cmp_ge_i64_e64 s[0:1], s[16:17], v[8:9]
	v_addc_co_u32_e32 v3, vcc, 0, v3, vcc
	s_and_b64 vcc, exec, s[0:1]
	s_cbranch_vccz .LBB33_12
.LBB33_13:
	v_mov_b32_e32 v1, s13
	v_add_co_u32_e32 v6, vcc, s12, v0
	v_addc_co_u32_e32 v7, vcc, 0, v1, vcc
	v_cmp_gt_i64_e32 vcc, s[2:3], v[6:7]
                                        ; implicit-def: $vgpr6_vgpr7
	s_and_saveexec_b64 s[0:1], vcc
	s_cbranch_execz .LBB33_15
; %bb.14:
	s_lshl_b64 s[10:11], s[10:11], 3
	s_add_u32 s8, s8, s10
	s_addc_u32 s9, s9, s11
	v_mov_b32_e32 v1, s9
	v_add_co_u32_e32 v4, vcc, s8, v4
	v_addc_co_u32_e32 v1, vcc, v1, v5, vcc
	s_lshl_b64 s[8:9], s[12:13], 3
	v_mov_b32_e32 v5, s9
	v_add_co_u32_e32 v6, vcc, s8, v4
	v_addc_co_u32_e32 v7, vcc, v1, v5, vcc
	s_or_b64 s[14:15], s[14:15], exec
.LBB33_15:
	s_or_b64 exec, exec, s[0:1]
.LBB33_16:
	s_and_saveexec_b64 s[8:9], s[14:15]
	s_cbranch_execz .LBB33_18
; %bb.17:
	global_load_dwordx2 v[4:5], v[6:7], off
	s_waitcnt vmcnt(0)
	v_cmp_neq_f32_e32 vcc, 0, v4
	v_cmp_neq_f32_e64 s[0:1], 0, v5
	s_or_b64 s[0:1], vcc, s[0:1]
	v_cndmask_b32_e64 v1, 0, 1, s[0:1]
	v_add_co_u32_e32 v2, vcc, v2, v1
	v_addc_co_u32_e32 v3, vcc, 0, v3, vcc
.LBB33_18:
	s_or_b64 exec, exec, s[8:9]
	v_mov_b32_e32 v5, 0x100
	v_mov_b32_e32 v6, 0
	v_cmp_lt_i64_e32 vcc, s[2:3], v[5:6]
	v_lshlrev_b32_e32 v4, 3, v0
	s_mov_b64 s[8:9], -1
	v_cmp_eq_u32_e64 s[0:1], 0, v0
	ds_write_b64 v4, v[2:3]
	s_waitcnt lgkmcnt(0)
	s_cbranch_vccnz .LBB33_22
; %bb.19:
	s_and_b64 vcc, exec, s[8:9]
	s_cbranch_vccnz .LBB33_31
.LBB33_20:
	v_cmp_eq_u32_e32 vcc, 0, v0
	s_and_saveexec_b64 s[0:1], vcc
	s_cbranch_execnz .LBB33_48
.LBB33_21:
	s_endpgm
.LBB33_22:
	v_cmp_gt_i64_e64 s[8:9], s[2:3], 1
	s_mov_b64 s[10:11], 1
	s_and_b64 s[8:9], s[0:1], s[8:9]
	s_barrier
	s_and_saveexec_b64 s[0:1], s[8:9]
	s_cbranch_execz .LBB33_30
; %bb.23:
	s_add_u32 s11, s2, -1
	v_mov_b32_e32 v1, 0
	s_addc_u32 s9, s3, -1
	ds_read_b64 v[1:2], v1
	s_add_u32 s2, s2, -2
	s_addc_u32 s3, s3, -1
	v_cmp_lt_u64_e64 s[2:3], s[2:3], 7
	s_and_b64 vcc, exec, s[2:3]
	s_cbranch_vccnz .LBB33_26
; %bb.24:
	s_and_b32 s8, s11, -8
	s_mov_b64 s[2:3], 0
	s_mov_b32 s12, 8
.LBB33_25:                              ; =>This Inner Loop Header: Depth=1
	v_mov_b32_e32 v3, s12
	ds_read2_b64 v[5:8], v3 offset1:1
	ds_read2_b64 v[9:12], v3 offset0:2 offset1:3
	ds_read2_b64 v[13:16], v3 offset0:4 offset1:5
	ds_read2_b64 v[17:20], v3 offset0:6 offset1:7
	s_add_u32 s14, s2, 8
	s_waitcnt lgkmcnt(3)
	v_add_co_u32_e32 v1, vcc, v1, v5
	v_addc_co_u32_e32 v2, vcc, v2, v6, vcc
	v_add_co_u32_e32 v1, vcc, v1, v7
	v_addc_co_u32_e32 v2, vcc, v2, v8, vcc
	s_waitcnt lgkmcnt(2)
	v_add_co_u32_e32 v1, vcc, v1, v9
	v_addc_co_u32_e32 v2, vcc, v2, v10, vcc
	v_add_co_u32_e32 v1, vcc, v1, v11
	v_addc_co_u32_e32 v2, vcc, v2, v12, vcc
	;; [unrolled: 5-line block ×3, first 2 shown]
	s_waitcnt lgkmcnt(0)
	v_add_co_u32_e32 v1, vcc, v1, v17
	v_addc_co_u32_e32 v2, vcc, v2, v18, vcc
	s_addc_u32 s15, s3, 0
	s_add_i32 s12, s12, 64
	s_add_u32 s10, s2, 9
	v_add_co_u32_e32 v1, vcc, v1, v19
	s_cmp_lg_u64 s[8:9], s[14:15]
	s_mov_b64 s[2:3], s[14:15]
	v_addc_co_u32_e32 v2, vcc, v2, v20, vcc
	s_cbranch_scc1 .LBB33_25
.LBB33_26:
	s_and_b32 s2, s11, 7
	s_mov_b32 s3, 0
	s_cmp_eq_u64 s[2:3], 0
	s_cbranch_scc1 .LBB33_29
; %bb.27:
	s_lshl_b32 s8, s10, 3
.LBB33_28:                              ; =>This Inner Loop Header: Depth=1
	v_mov_b32_e32 v3, s8
	ds_read_b64 v[5:6], v3
	s_add_i32 s8, s8, 8
	s_add_u32 s2, s2, -1
	s_addc_u32 s3, s3, -1
	s_cmp_lg_u64 s[2:3], 0
	s_waitcnt lgkmcnt(0)
	v_add_co_u32_e32 v1, vcc, v1, v5
	v_addc_co_u32_e32 v2, vcc, v2, v6, vcc
	s_cbranch_scc1 .LBB33_28
.LBB33_29:
	v_mov_b32_e32 v3, 0
	s_waitcnt lgkmcnt(0)
	ds_write_b64 v3, v[1:2]
.LBB33_30:
	s_or_b64 exec, exec, s[0:1]
	s_waitcnt lgkmcnt(0)
	s_barrier
	s_branch .LBB33_20
.LBB33_31:
	s_movk_i32 s0, 0x80
	v_cmp_gt_u32_e32 vcc, s0, v0
	s_barrier
	s_and_saveexec_b64 s[0:1], vcc
	s_cbranch_execz .LBB33_33
; %bb.32:
	ds_read2st64_b64 v[5:8], v4 offset1:2
	s_waitcnt lgkmcnt(0)
	v_add_co_u32_e32 v1, vcc, v5, v7
	v_addc_co_u32_e32 v2, vcc, v6, v8, vcc
	ds_write_b64 v4, v[1:2]
.LBB33_33:
	s_or_b64 exec, exec, s[0:1]
	v_cmp_gt_u32_e32 vcc, 64, v0
	s_waitcnt lgkmcnt(0)
	s_barrier
	s_and_saveexec_b64 s[0:1], vcc
	s_cbranch_execz .LBB33_35
; %bb.34:
	ds_read2st64_b64 v[5:8], v4 offset1:1
	s_waitcnt lgkmcnt(0)
	v_add_co_u32_e32 v1, vcc, v5, v7
	v_addc_co_u32_e32 v2, vcc, v6, v8, vcc
	ds_write_b64 v4, v[1:2]
.LBB33_35:
	s_or_b64 exec, exec, s[0:1]
	v_cmp_gt_u32_e32 vcc, 32, v0
	s_waitcnt lgkmcnt(0)
	s_barrier
	s_and_saveexec_b64 s[0:1], vcc
	s_cbranch_execz .LBB33_37
; %bb.36:
	ds_read2_b64 v[5:8], v4 offset1:32
	s_waitcnt lgkmcnt(0)
	v_add_co_u32_e32 v1, vcc, v5, v7
	v_addc_co_u32_e32 v2, vcc, v6, v8, vcc
	ds_write_b64 v4, v[1:2]
.LBB33_37:
	s_or_b64 exec, exec, s[0:1]
	v_cmp_gt_u32_e32 vcc, 16, v0
	s_waitcnt lgkmcnt(0)
	s_barrier
	s_and_saveexec_b64 s[0:1], vcc
	s_cbranch_execz .LBB33_39
; %bb.38:
	ds_read2_b64 v[5:8], v4 offset1:16
	s_waitcnt lgkmcnt(0)
	v_add_co_u32_e32 v1, vcc, v5, v7
	v_addc_co_u32_e32 v2, vcc, v6, v8, vcc
	ds_write_b64 v4, v[1:2]
.LBB33_39:
	;; [unrolled: 13-line block ×5, first 2 shown]
	s_or_b64 exec, exec, s[0:1]
	v_cmp_eq_u32_e32 vcc, 0, v0
	s_waitcnt lgkmcnt(0)
	s_barrier
	s_and_saveexec_b64 s[0:1], vcc
	s_cbranch_execz .LBB33_47
; %bb.46:
	v_mov_b32_e32 v5, 0
	ds_read_b128 v[1:4], v5
	s_waitcnt lgkmcnt(0)
	v_add_co_u32_e32 v1, vcc, v1, v3
	v_addc_co_u32_e32 v2, vcc, v2, v4, vcc
	ds_write_b64 v5, v[1:2]
.LBB33_47:
	s_or_b64 exec, exec, s[0:1]
	s_waitcnt lgkmcnt(0)
	s_barrier
	v_cmp_eq_u32_e32 vcc, 0, v0
	s_and_saveexec_b64 s[0:1], vcc
	s_cbranch_execz .LBB33_21
.LBB33_48:
	s_load_dwordx2 s[0:1], s[4:5], 0x28
	v_mov_b32_e32 v2, 0
	ds_read_b64 v[0:1], v2
	s_lshl_b64 s[2:3], s[6:7], 3
	s_waitcnt lgkmcnt(0)
	s_add_u32 s0, s0, s2
	s_addc_u32 s1, s1, s3
	global_store_dwordx2 v2, v[0:1], s[0:1]
	s_endpgm
	.section	.rodata,"a",@progbits
	.p2align	6, 0x0
	.amdhsa_kernel _ZN9rocsparseL14nnz_kernel_colILi256Ell21rocsparse_complex_numIfEEEv16rocsparse_order_T1_S4_PKT2_lPT0_
		.amdhsa_group_segment_fixed_size 2048
		.amdhsa_private_segment_fixed_size 0
		.amdhsa_kernarg_size 48
		.amdhsa_user_sgpr_count 6
		.amdhsa_user_sgpr_private_segment_buffer 1
		.amdhsa_user_sgpr_dispatch_ptr 0
		.amdhsa_user_sgpr_queue_ptr 0
		.amdhsa_user_sgpr_kernarg_segment_ptr 1
		.amdhsa_user_sgpr_dispatch_id 0
		.amdhsa_user_sgpr_flat_scratch_init 0
		.amdhsa_user_sgpr_private_segment_size 0
		.amdhsa_uses_dynamic_stack 0
		.amdhsa_system_sgpr_private_segment_wavefront_offset 0
		.amdhsa_system_sgpr_workgroup_id_x 1
		.amdhsa_system_sgpr_workgroup_id_y 0
		.amdhsa_system_sgpr_workgroup_id_z 0
		.amdhsa_system_sgpr_workgroup_info 0
		.amdhsa_system_vgpr_workitem_id 0
		.amdhsa_next_free_vgpr 21
		.amdhsa_next_free_sgpr 20
		.amdhsa_reserve_vcc 1
		.amdhsa_reserve_flat_scratch 0
		.amdhsa_float_round_mode_32 0
		.amdhsa_float_round_mode_16_64 0
		.amdhsa_float_denorm_mode_32 3
		.amdhsa_float_denorm_mode_16_64 3
		.amdhsa_dx10_clamp 1
		.amdhsa_ieee_mode 1
		.amdhsa_fp16_overflow 0
		.amdhsa_exception_fp_ieee_invalid_op 0
		.amdhsa_exception_fp_denorm_src 0
		.amdhsa_exception_fp_ieee_div_zero 0
		.amdhsa_exception_fp_ieee_overflow 0
		.amdhsa_exception_fp_ieee_underflow 0
		.amdhsa_exception_fp_ieee_inexact 0
		.amdhsa_exception_int_div_zero 0
	.end_amdhsa_kernel
	.section	.text._ZN9rocsparseL14nnz_kernel_colILi256Ell21rocsparse_complex_numIfEEEv16rocsparse_order_T1_S4_PKT2_lPT0_,"axG",@progbits,_ZN9rocsparseL14nnz_kernel_colILi256Ell21rocsparse_complex_numIfEEEv16rocsparse_order_T1_S4_PKT2_lPT0_,comdat
.Lfunc_end33:
	.size	_ZN9rocsparseL14nnz_kernel_colILi256Ell21rocsparse_complex_numIfEEEv16rocsparse_order_T1_S4_PKT2_lPT0_, .Lfunc_end33-_ZN9rocsparseL14nnz_kernel_colILi256Ell21rocsparse_complex_numIfEEEv16rocsparse_order_T1_S4_PKT2_lPT0_
                                        ; -- End function
	.set _ZN9rocsparseL14nnz_kernel_colILi256Ell21rocsparse_complex_numIfEEEv16rocsparse_order_T1_S4_PKT2_lPT0_.num_vgpr, 21
	.set _ZN9rocsparseL14nnz_kernel_colILi256Ell21rocsparse_complex_numIfEEEv16rocsparse_order_T1_S4_PKT2_lPT0_.num_agpr, 0
	.set _ZN9rocsparseL14nnz_kernel_colILi256Ell21rocsparse_complex_numIfEEEv16rocsparse_order_T1_S4_PKT2_lPT0_.numbered_sgpr, 20
	.set _ZN9rocsparseL14nnz_kernel_colILi256Ell21rocsparse_complex_numIfEEEv16rocsparse_order_T1_S4_PKT2_lPT0_.num_named_barrier, 0
	.set _ZN9rocsparseL14nnz_kernel_colILi256Ell21rocsparse_complex_numIfEEEv16rocsparse_order_T1_S4_PKT2_lPT0_.private_seg_size, 0
	.set _ZN9rocsparseL14nnz_kernel_colILi256Ell21rocsparse_complex_numIfEEEv16rocsparse_order_T1_S4_PKT2_lPT0_.uses_vcc, 1
	.set _ZN9rocsparseL14nnz_kernel_colILi256Ell21rocsparse_complex_numIfEEEv16rocsparse_order_T1_S4_PKT2_lPT0_.uses_flat_scratch, 0
	.set _ZN9rocsparseL14nnz_kernel_colILi256Ell21rocsparse_complex_numIfEEEv16rocsparse_order_T1_S4_PKT2_lPT0_.has_dyn_sized_stack, 0
	.set _ZN9rocsparseL14nnz_kernel_colILi256Ell21rocsparse_complex_numIfEEEv16rocsparse_order_T1_S4_PKT2_lPT0_.has_recursion, 0
	.set _ZN9rocsparseL14nnz_kernel_colILi256Ell21rocsparse_complex_numIfEEEv16rocsparse_order_T1_S4_PKT2_lPT0_.has_indirect_call, 0
	.section	.AMDGPU.csdata,"",@progbits
; Kernel info:
; codeLenInByte = 1640
; TotalNumSgprs: 24
; NumVgprs: 21
; ScratchSize: 0
; MemoryBound: 0
; FloatMode: 240
; IeeeMode: 1
; LDSByteSize: 2048 bytes/workgroup (compile time only)
; SGPRBlocks: 2
; VGPRBlocks: 5
; NumSGPRsForWavesPerEU: 24
; NumVGPRsForWavesPerEU: 21
; Occupancy: 10
; WaveLimiterHint : 0
; COMPUTE_PGM_RSRC2:SCRATCH_EN: 0
; COMPUTE_PGM_RSRC2:USER_SGPR: 6
; COMPUTE_PGM_RSRC2:TRAP_HANDLER: 0
; COMPUTE_PGM_RSRC2:TGID_X_EN: 1
; COMPUTE_PGM_RSRC2:TGID_Y_EN: 0
; COMPUTE_PGM_RSRC2:TGID_Z_EN: 0
; COMPUTE_PGM_RSRC2:TIDIG_COMP_CNT: 0
	.section	.text._ZN9rocsparseL14nnz_kernel_rowILi64ELi16Ell21rocsparse_complex_numIdEEEv16rocsparse_order_T2_S4_PKT3_lPT1_,"axG",@progbits,_ZN9rocsparseL14nnz_kernel_rowILi64ELi16Ell21rocsparse_complex_numIdEEEv16rocsparse_order_T2_S4_PKT3_lPT1_,comdat
	.globl	_ZN9rocsparseL14nnz_kernel_rowILi64ELi16Ell21rocsparse_complex_numIdEEEv16rocsparse_order_T2_S4_PKT3_lPT1_ ; -- Begin function _ZN9rocsparseL14nnz_kernel_rowILi64ELi16Ell21rocsparse_complex_numIdEEEv16rocsparse_order_T2_S4_PKT3_lPT1_
	.p2align	8
	.type	_ZN9rocsparseL14nnz_kernel_rowILi64ELi16Ell21rocsparse_complex_numIdEEEv16rocsparse_order_T2_S4_PKT3_lPT1_,@function
_ZN9rocsparseL14nnz_kernel_rowILi64ELi16Ell21rocsparse_complex_numIdEEEv16rocsparse_order_T2_S4_PKT3_lPT1_: ; @_ZN9rocsparseL14nnz_kernel_rowILi64ELi16Ell21rocsparse_complex_numIdEEEv16rocsparse_order_T2_S4_PKT3_lPT1_
; %bb.0:
	s_load_dword s0, s[4:5], 0x3c
	s_load_dwordx2 s[26:27], s[4:5], 0x28
	s_load_dword s52, s[4:5], 0x0
	s_load_dwordx8 s[36:43], s[4:5], 0x8
	s_lshl_b32 s33, s6, 8
	s_waitcnt lgkmcnt(0)
	s_and_b32 s0, s0, 0xffff
	v_mad_u32_u24 v28, v1, s0, v0
	v_mov_b32_e32 v19, 0
	s_ashr_i32 s0, s39, 31
	s_lshr_b32 s0, s0, 26
	s_add_u32 s0, s38, s0
	v_lshrrev_b32_e32 v0, 4, v28
	v_and_b32_e32 v29, 63, v28
	s_addc_u32 s31, s39, 0
	s_and_b32 s30, s0, 0xffffffc0
	v_and_b32_e32 v16, 0x7ffffc, v0
	v_mov_b32_e32 v17, v19
	v_or_b32_e32 v18, s33, v29
	s_sub_u32 s28, s38, s30
	v_cmp_gt_i64_e32 vcc, s[30:31], v[16:17]
	s_subb_u32 s29, s39, s31
	v_mov_b32_e32 v0, v19
	v_mov_b32_e32 v1, v19
	;; [unrolled: 1-line block ×8, first 2 shown]
	v_or_b32_e32 v20, 64, v18
	s_and_saveexec_b64 s[34:35], vcc
	s_cbranch_execz .LBB34_28
; %bb.1:
	v_or_b32_e32 v0, 0x80, v18
	v_mov_b32_e32 v1, v19
	v_cmp_gt_i64_e64 s[0:1], s[36:37], v[0:1]
	v_add_co_u32_e32 v0, vcc, s33, v29
	v_addc_co_u32_e64 v1, s[2:3], 0, 0, vcc
	v_mul_lo_u32 v6, s43, v0
	v_mul_lo_u32 v7, s42, v1
	v_mad_u64_u32 v[2:3], s[2:3], s42, v0, 0
	v_or_b32_e32 v4, 0xc0, v18
	v_mov_b32_e32 v5, v19
	v_cmp_gt_i64_e64 s[2:3], s[36:37], v[4:5]
	v_add_co_u32_e32 v4, vcc, 64, v0
	v_addc_co_u32_e32 v5, vcc, 0, v1, vcc
	v_add3_u32 v3, v3, v7, v6
	v_mul_lo_u32 v7, s43, v4
	v_mul_lo_u32 v9, s42, v5
	v_mad_u64_u32 v[4:5], s[4:5], s42, v4, 0
	v_lshlrev_b64 v[2:3], 4, v[2:3]
	v_and_b32_e32 v8, 0x7ffffc0, v28
	v_add_co_u32_e32 v26, vcc, v2, v8
	s_movk_i32 s6, 0x80
	v_addc_co_u32_e32 v27, vcc, 0, v3, vcc
	v_add3_u32 v5, v5, v9, v7
	v_lshlrev_b64 v[2:3], 4, v[4:5]
	v_add_co_u32_e32 v4, vcc, s6, v0
	v_addc_co_u32_e32 v5, vcc, 0, v1, vcc
	v_mul_lo_u32 v7, s43, v4
	v_mul_lo_u32 v9, s42, v5
	v_mad_u64_u32 v[4:5], s[4:5], s42, v4, 0
	v_add_co_u32_e32 v30, vcc, v2, v8
	s_movk_i32 s7, 0xc0
	v_addc_co_u32_e32 v31, vcc, 0, v3, vcc
	v_add3_u32 v5, v5, v9, v7
	v_lshlrev_b64 v[2:3], 4, v[4:5]
	v_add_co_u32_e32 v4, vcc, s7, v0
	v_addc_co_u32_e32 v5, vcc, 0, v1, vcc
	v_mul_lo_u32 v7, s43, v4
	v_mul_lo_u32 v9, s42, v5
	v_mad_u64_u32 v[4:5], s[4:5], s42, v4, 0
	v_lshlrev_b64 v[0:1], 4, v[0:1]
	v_or_b32_e32 v10, 48, v8
	v_mad_u64_u32 v[22:23], s[4:5], s42, v10, v[0:1]
	v_add_co_u32_e32 v32, vcc, v2, v8
	v_add3_u32 v5, v5, v9, v7
	v_addc_co_u32_e32 v33, vcc, 0, v3, vcc
	v_lshlrev_b64 v[2:3], 4, v[4:5]
	v_lshrrev_b32_e32 v6, 6, v28
	v_mov_b32_e32 v4, v23
	v_add_co_u32_e32 v34, vcc, v2, v8
	v_or_b32_e32 v7, 32, v8
	v_mad_u64_u32 v[4:5], s[4:5], s43, v10, v[4:5]
	v_addc_co_u32_e32 v35, vcc, 0, v3, vcc
	v_mad_u64_u32 v[2:3], s[4:5], s42, v6, 0
	v_mad_u64_u32 v[23:24], s[4:5], s42, v7, v[0:1]
	v_mad_u64_u32 v[5:6], s[4:5], s43, v6, v[3:4]
	v_mov_b32_e32 v3, v24
	v_mad_u64_u32 v[6:7], s[4:5], s43, v7, v[3:4]
	v_or_b32_e32 v7, 16, v8
	v_mad_u64_u32 v[24:25], s[4:5], s42, v7, v[0:1]
	v_mov_b32_e32 v36, v4
	v_mov_b32_e32 v3, v5
	;; [unrolled: 1-line block ×3, first 2 shown]
	v_mad_u64_u32 v[4:5], s[4:5], s43, v7, v[4:5]
	v_lshlrev_b64 v[2:3], 6, v[2:3]
	v_mov_b32_e32 v21, v19
	s_cmp_lg_u32 s52, 1
	v_cmp_gt_i64_e64 s[4:5], s[36:37], v[18:19]
	v_cmp_gt_i64_e64 s[6:7], s[36:37], v[20:21]
	v_add_co_u32_e32 v25, vcc, v2, v0
	v_mov_b32_e32 v37, v6
	s_cselect_b64 s[44:45], -1, 0
	s_lshl_b64 s[46:47], s[42:43], 10
	v_mov_b32_e32 v21, v4
	v_addc_co_u32_e32 v38, vcc, v3, v1, vcc
	v_mov_b32_e32 v0, v19
	v_mov_b32_e32 v1, v19
	v_mov_b32_e32 v2, v19
	v_mov_b32_e32 v3, v19
	v_mov_b32_e32 v4, v19
	v_mov_b32_e32 v5, v19
	v_mov_b32_e32 v6, v19
	v_mov_b32_e32 v7, v19
	s_mov_b64 s[48:49], 0
	s_branch .LBB34_4
.LBB34_2:                               ;   in Loop: Header=BB34_4 Depth=1
	v_mov_b32_e32 v0, v8
	v_mov_b32_e32 v1, v9
	;; [unrolled: 1-line block ×8, first 2 shown]
.LBB34_3:                               ;   in Loop: Header=BB34_4 Depth=1
	s_or_b64 exec, exec, s[22:23]
	v_add_co_u32_e32 v16, vcc, 64, v16
	v_addc_co_u32_e32 v17, vcc, 0, v17, vcc
	v_add_co_u32_e32 v26, vcc, 0x400, v26
	v_addc_co_u32_e32 v27, vcc, 0, v27, vcc
	;; [unrolled: 2-line block ×5, first 2 shown]
	v_mov_b32_e32 v8, s47
	v_add_co_u32_e32 v22, vcc, s46, v22
	v_addc_co_u32_e32 v36, vcc, v36, v8, vcc
	v_add_co_u32_e32 v23, vcc, s46, v23
	v_addc_co_u32_e32 v37, vcc, v37, v8, vcc
	v_cmp_le_i64_e32 vcc, s[30:31], v[16:17]
	v_add_co_u32_e64 v24, s[8:9], s46, v24
	s_or_b64 s[48:49], vcc, s[48:49]
	v_add_co_u32_e32 v25, vcc, s46, v25
	v_addc_co_u32_e64 v21, s[8:9], v21, v8, s[8:9]
	v_addc_co_u32_e32 v38, vcc, v38, v8, vcc
	s_andn2_b64 exec, exec, s[48:49]
	s_cbranch_execz .LBB34_27
.LBB34_4:                               ; =>This Inner Loop Header: Depth=1
	v_cndmask_b32_e64 v8, 0, 1, s[44:45]
	v_cmp_ne_u32_e64 s[8:9], 1, v8
	s_and_saveexec_b64 s[50:51], s[4:5]
	s_cbranch_execnz .LBB34_8
; %bb.5:                                ;   in Loop: Header=BB34_4 Depth=1
	s_or_b64 exec, exec, s[50:51]
	s_and_saveexec_b64 s[24:25], s[6:7]
	s_cbranch_execnz .LBB34_13
.LBB34_6:                               ;   in Loop: Header=BB34_4 Depth=1
	s_or_b64 exec, exec, s[24:25]
	s_and_saveexec_b64 s[24:25], s[0:1]
	s_cbranch_execnz .LBB34_18
.LBB34_7:                               ;   in Loop: Header=BB34_4 Depth=1
	s_or_b64 exec, exec, s[24:25]
	s_and_saveexec_b64 s[22:23], s[2:3]
	s_cbranch_execz .LBB34_3
	s_branch .LBB34_23
.LBB34_8:                               ;   in Loop: Header=BB34_4 Depth=1
	s_and_b64 vcc, exec, s[8:9]
	s_mov_b64 s[10:11], -1
                                        ; implicit-def: $vgpr8_vgpr9_vgpr10_vgpr11_vgpr12_vgpr13_vgpr14_vgpr15
	s_cbranch_vccnz .LBB34_10
; %bb.9:                                ;   in Loop: Header=BB34_4 Depth=1
	v_mov_b32_e32 v9, s41
	v_add_co_u32_e32 v8, vcc, s40, v26
	v_addc_co_u32_e32 v9, vcc, v9, v27, vcc
	global_load_dwordx4 v[39:42], v[8:9], off
	global_load_dwordx4 v[43:46], v[8:9], off offset:16
	global_load_dwordx4 v[47:50], v[8:9], off offset:32
	global_load_dwordx4 v[51:54], v[8:9], off offset:48
	v_add_co_u32_e32 v8, vcc, 1, v0
	v_addc_co_u32_e32 v9, vcc, 0, v1, vcc
	v_mov_b32_e32 v10, v2
	v_mov_b32_e32 v11, v3
	;; [unrolled: 1-line block ×6, first 2 shown]
	s_waitcnt vmcnt(3)
	v_cmp_neq_f64_e64 s[10:11], 0, v[39:40]
	v_cmp_neq_f64_e64 s[12:13], 0, v[41:42]
	s_waitcnt vmcnt(2)
	v_cmp_neq_f64_e64 s[14:15], 0, v[43:44]
	v_cmp_neq_f64_e64 s[16:17], 0, v[45:46]
	;; [unrolled: 3-line block ×4, first 2 shown]
	s_or_b64 vcc, s[10:11], s[12:13]
	v_cndmask_b32_e32 v8, v0, v8, vcc
	s_or_b64 s[10:11], s[14:15], s[16:17]
	v_cndmask_b32_e32 v9, v1, v9, vcc
	v_add_co_u32_e32 v39, vcc, 1, v8
	v_addc_co_u32_e32 v40, vcc, 0, v9, vcc
	v_cndmask_b32_e64 v8, v8, v39, s[10:11]
	s_or_b64 s[12:13], s[18:19], s[20:21]
	v_cndmask_b32_e64 v9, v9, v40, s[10:11]
	v_add_co_u32_e32 v39, vcc, 1, v8
	v_addc_co_u32_e32 v40, vcc, 0, v9, vcc
	v_cndmask_b32_e64 v8, v8, v39, s[12:13]
	v_cndmask_b32_e64 v9, v9, v40, s[12:13]
	v_add_co_u32_e32 v39, vcc, 1, v8
	s_or_b64 s[14:15], s[22:23], s[24:25]
	v_addc_co_u32_e32 v40, vcc, 0, v9, vcc
	v_cndmask_b32_e64 v8, v8, v39, s[14:15]
	v_cndmask_b32_e64 v9, v9, v40, s[14:15]
	s_mov_b64 s[10:11], 0
.LBB34_10:                              ;   in Loop: Header=BB34_4 Depth=1
	s_andn2_b64 vcc, exec, s[10:11]
	s_cbranch_vccnz .LBB34_12
; %bb.11:                               ;   in Loop: Header=BB34_4 Depth=1
	v_mov_b32_e32 v9, s41
	v_add_co_u32_e32 v8, vcc, s40, v25
	v_addc_co_u32_e32 v9, vcc, v9, v38, vcc
	v_mov_b32_e32 v10, s41
	v_add_co_u32_e32 v12, vcc, s40, v24
	v_addc_co_u32_e32 v13, vcc, v10, v21, vcc
	global_load_dwordx4 v[8:11], v[8:9], off
	s_nop 0
	global_load_dwordx4 v[12:15], v[12:13], off
	v_mov_b32_e32 v40, s41
	v_add_co_u32_e32 v39, vcc, s40, v23
	v_addc_co_u32_e32 v40, vcc, v40, v37, vcc
	global_load_dwordx4 v[39:42], v[39:40], off
	v_mov_b32_e32 v44, s41
	v_add_co_u32_e32 v43, vcc, s40, v22
	v_addc_co_u32_e32 v44, vcc, v44, v36, vcc
	global_load_dwordx4 v[43:46], v[43:44], off
	s_waitcnt vmcnt(3)
	v_cmp_neq_f64_e32 vcc, 0, v[8:9]
	v_cmp_neq_f64_e64 s[10:11], 0, v[10:11]
	v_add_co_u32_e64 v8, s[12:13], 1, v0
	v_addc_co_u32_e64 v9, s[12:13], 0, v1, s[12:13]
	s_waitcnt vmcnt(2)
	v_cmp_neq_f64_e64 s[12:13], 0, v[12:13]
	v_cmp_neq_f64_e64 s[14:15], 0, v[14:15]
	s_waitcnt vmcnt(1)
	v_cmp_neq_f64_e64 s[16:17], 0, v[39:40]
	v_cmp_neq_f64_e64 s[18:19], 0, v[41:42]
	s_or_b64 vcc, vcc, s[10:11]
	v_cndmask_b32_e32 v0, v0, v8, vcc
	v_cndmask_b32_e32 v1, v1, v9, vcc
	v_add_co_u32_e32 v8, vcc, 1, v0
	v_addc_co_u32_e32 v9, vcc, 0, v1, vcc
	s_waitcnt vmcnt(0)
	v_cmp_neq_f64_e64 s[20:21], 0, v[43:44]
	v_cmp_neq_f64_e64 s[22:23], 0, v[45:46]
	s_or_b64 vcc, s[12:13], s[14:15]
	v_cndmask_b32_e32 v0, v0, v8, vcc
	v_cndmask_b32_e32 v1, v1, v9, vcc
	v_add_co_u32_e32 v8, vcc, 1, v0
	v_addc_co_u32_e32 v9, vcc, 0, v1, vcc
	s_or_b64 vcc, s[16:17], s[18:19]
	v_cndmask_b32_e32 v0, v0, v8, vcc
	v_cndmask_b32_e32 v1, v1, v9, vcc
	v_add_co_u32_e32 v8, vcc, 1, v0
	v_addc_co_u32_e32 v9, vcc, 0, v1, vcc
	s_or_b64 vcc, s[20:21], s[22:23]
	v_cndmask_b32_e32 v1, v1, v9, vcc
	v_cndmask_b32_e32 v0, v0, v8, vcc
	v_mov_b32_e32 v15, v7
	v_mov_b32_e32 v14, v6
	;; [unrolled: 1-line block ×8, first 2 shown]
.LBB34_12:                              ;   in Loop: Header=BB34_4 Depth=1
	v_mov_b32_e32 v0, v8
	v_mov_b32_e32 v1, v9
	v_mov_b32_e32 v2, v10
	v_mov_b32_e32 v3, v11
	v_mov_b32_e32 v4, v12
	v_mov_b32_e32 v5, v13
	v_mov_b32_e32 v6, v14
	v_mov_b32_e32 v7, v15
	s_or_b64 exec, exec, s[50:51]
	s_and_saveexec_b64 s[24:25], s[6:7]
	s_cbranch_execz .LBB34_6
.LBB34_13:                              ;   in Loop: Header=BB34_4 Depth=1
	s_and_b64 vcc, exec, s[8:9]
	s_mov_b64 s[10:11], -1
                                        ; implicit-def: $vgpr8_vgpr9_vgpr10_vgpr11_vgpr12_vgpr13_vgpr14_vgpr15
	s_cbranch_vccnz .LBB34_15
; %bb.14:                               ;   in Loop: Header=BB34_4 Depth=1
	v_mov_b32_e32 v9, s41
	v_add_co_u32_e32 v8, vcc, s40, v30
	v_addc_co_u32_e32 v9, vcc, v9, v31, vcc
	global_load_dwordx4 v[39:42], v[8:9], off
	global_load_dwordx4 v[43:46], v[8:9], off offset:16
	global_load_dwordx4 v[47:50], v[8:9], off offset:32
	;; [unrolled: 1-line block ×3, first 2 shown]
	v_add_co_u32_e32 v10, vcc, 1, v2
	v_addc_co_u32_e32 v11, vcc, 0, v3, vcc
	v_mov_b32_e32 v8, v0
	v_mov_b32_e32 v9, v1
	;; [unrolled: 1-line block ×6, first 2 shown]
	s_waitcnt vmcnt(3)
	v_cmp_neq_f64_e32 vcc, 0, v[39:40]
	v_cmp_neq_f64_e64 s[10:11], 0, v[41:42]
	s_waitcnt vmcnt(2)
	v_cmp_neq_f64_e64 s[12:13], 0, v[43:44]
	v_cmp_neq_f64_e64 s[14:15], 0, v[45:46]
	s_waitcnt vmcnt(1)
	v_cmp_neq_f64_e64 s[16:17], 0, v[47:48]
	;; [unrolled: 3-line block ×3, first 2 shown]
	v_cmp_neq_f64_e64 s[22:23], 0, v[53:54]
	s_or_b64 vcc, vcc, s[10:11]
	v_cndmask_b32_e32 v10, v2, v10, vcc
	v_cndmask_b32_e32 v11, v3, v11, vcc
	v_add_co_u32_e32 v39, vcc, 1, v10
	v_addc_co_u32_e32 v40, vcc, 0, v11, vcc
	s_or_b64 vcc, s[12:13], s[14:15]
	v_cndmask_b32_e32 v10, v10, v39, vcc
	v_cndmask_b32_e32 v11, v11, v40, vcc
	v_add_co_u32_e32 v39, vcc, 1, v10
	v_addc_co_u32_e32 v40, vcc, 0, v11, vcc
	s_or_b64 vcc, s[16:17], s[18:19]
	;; [unrolled: 5-line block ×3, first 2 shown]
	v_cndmask_b32_e32 v11, v11, v40, vcc
	v_cndmask_b32_e32 v10, v10, v39, vcc
	s_mov_b64 s[10:11], 0
.LBB34_15:                              ;   in Loop: Header=BB34_4 Depth=1
	s_andn2_b64 vcc, exec, s[10:11]
	s_cbranch_vccnz .LBB34_17
; %bb.16:                               ;   in Loop: Header=BB34_4 Depth=1
	v_mov_b32_e32 v9, s41
	v_add_co_u32_e32 v8, vcc, s40, v25
	v_addc_co_u32_e32 v9, vcc, v9, v38, vcc
	v_mov_b32_e32 v10, s41
	v_add_co_u32_e32 v12, vcc, s40, v24
	v_addc_co_u32_e32 v13, vcc, v10, v21, vcc
	global_load_dwordx4 v[8:11], v[8:9], off offset:1024
	s_nop 0
	global_load_dwordx4 v[12:15], v[12:13], off offset:1024
	v_mov_b32_e32 v40, s41
	v_add_co_u32_e32 v39, vcc, s40, v23
	v_addc_co_u32_e32 v40, vcc, v40, v37, vcc
	global_load_dwordx4 v[39:42], v[39:40], off offset:1024
	v_mov_b32_e32 v44, s41
	v_add_co_u32_e32 v43, vcc, s40, v22
	v_addc_co_u32_e32 v44, vcc, v44, v36, vcc
	global_load_dwordx4 v[43:46], v[43:44], off offset:1024
	s_waitcnt vmcnt(3)
	v_cmp_neq_f64_e32 vcc, 0, v[8:9]
	v_cmp_neq_f64_e64 s[10:11], 0, v[10:11]
	v_add_co_u32_e64 v8, s[12:13], 1, v2
	v_addc_co_u32_e64 v9, s[12:13], 0, v3, s[12:13]
	s_waitcnt vmcnt(2)
	v_cmp_neq_f64_e64 s[12:13], 0, v[12:13]
	v_cmp_neq_f64_e64 s[14:15], 0, v[14:15]
	s_waitcnt vmcnt(1)
	v_cmp_neq_f64_e64 s[16:17], 0, v[39:40]
	v_cmp_neq_f64_e64 s[18:19], 0, v[41:42]
	s_or_b64 vcc, vcc, s[10:11]
	v_cndmask_b32_e32 v2, v2, v8, vcc
	v_cndmask_b32_e32 v3, v3, v9, vcc
	v_add_co_u32_e32 v8, vcc, 1, v2
	v_addc_co_u32_e32 v9, vcc, 0, v3, vcc
	s_waitcnt vmcnt(0)
	v_cmp_neq_f64_e64 s[20:21], 0, v[43:44]
	v_cmp_neq_f64_e64 s[22:23], 0, v[45:46]
	s_or_b64 vcc, s[12:13], s[14:15]
	v_cndmask_b32_e32 v2, v2, v8, vcc
	v_cndmask_b32_e32 v3, v3, v9, vcc
	v_add_co_u32_e32 v8, vcc, 1, v2
	v_addc_co_u32_e32 v9, vcc, 0, v3, vcc
	s_or_b64 vcc, s[16:17], s[18:19]
	v_cndmask_b32_e32 v2, v2, v8, vcc
	v_cndmask_b32_e32 v3, v3, v9, vcc
	v_add_co_u32_e32 v8, vcc, 1, v2
	v_addc_co_u32_e32 v9, vcc, 0, v3, vcc
	s_or_b64 vcc, s[20:21], s[22:23]
	v_cndmask_b32_e32 v3, v3, v9, vcc
	v_cndmask_b32_e32 v2, v2, v8, vcc
	v_mov_b32_e32 v15, v7
	v_mov_b32_e32 v14, v6
	;; [unrolled: 1-line block ×8, first 2 shown]
.LBB34_17:                              ;   in Loop: Header=BB34_4 Depth=1
	v_mov_b32_e32 v0, v8
	v_mov_b32_e32 v1, v9
	;; [unrolled: 1-line block ×8, first 2 shown]
	s_or_b64 exec, exec, s[24:25]
	s_and_saveexec_b64 s[24:25], s[0:1]
	s_cbranch_execz .LBB34_7
.LBB34_18:                              ;   in Loop: Header=BB34_4 Depth=1
	s_and_b64 vcc, exec, s[8:9]
	s_mov_b64 s[10:11], -1
                                        ; implicit-def: $vgpr8_vgpr9_vgpr10_vgpr11_vgpr12_vgpr13_vgpr14_vgpr15
	s_cbranch_vccnz .LBB34_20
; %bb.19:                               ;   in Loop: Header=BB34_4 Depth=1
	v_mov_b32_e32 v9, s41
	v_add_co_u32_e32 v8, vcc, s40, v32
	v_addc_co_u32_e32 v9, vcc, v9, v33, vcc
	global_load_dwordx4 v[39:42], v[8:9], off
	global_load_dwordx4 v[43:46], v[8:9], off offset:16
	global_load_dwordx4 v[47:50], v[8:9], off offset:32
	;; [unrolled: 1-line block ×3, first 2 shown]
	v_add_co_u32_e32 v12, vcc, 1, v4
	v_addc_co_u32_e32 v13, vcc, 0, v5, vcc
	v_mov_b32_e32 v8, v0
	v_mov_b32_e32 v9, v1
	;; [unrolled: 1-line block ×6, first 2 shown]
	s_waitcnt vmcnt(3)
	v_cmp_neq_f64_e32 vcc, 0, v[39:40]
	v_cmp_neq_f64_e64 s[10:11], 0, v[41:42]
	s_waitcnt vmcnt(2)
	v_cmp_neq_f64_e64 s[12:13], 0, v[43:44]
	v_cmp_neq_f64_e64 s[14:15], 0, v[45:46]
	s_waitcnt vmcnt(1)
	v_cmp_neq_f64_e64 s[16:17], 0, v[47:48]
	;; [unrolled: 3-line block ×3, first 2 shown]
	v_cmp_neq_f64_e64 s[22:23], 0, v[53:54]
	s_or_b64 vcc, vcc, s[10:11]
	v_cndmask_b32_e32 v12, v4, v12, vcc
	v_cndmask_b32_e32 v13, v5, v13, vcc
	v_add_co_u32_e32 v39, vcc, 1, v12
	v_addc_co_u32_e32 v40, vcc, 0, v13, vcc
	s_or_b64 vcc, s[12:13], s[14:15]
	v_cndmask_b32_e32 v12, v12, v39, vcc
	v_cndmask_b32_e32 v13, v13, v40, vcc
	v_add_co_u32_e32 v39, vcc, 1, v12
	v_addc_co_u32_e32 v40, vcc, 0, v13, vcc
	s_or_b64 vcc, s[16:17], s[18:19]
	;; [unrolled: 5-line block ×3, first 2 shown]
	v_cndmask_b32_e32 v13, v13, v40, vcc
	v_cndmask_b32_e32 v12, v12, v39, vcc
	s_mov_b64 s[10:11], 0
.LBB34_20:                              ;   in Loop: Header=BB34_4 Depth=1
	s_andn2_b64 vcc, exec, s[10:11]
	s_cbranch_vccnz .LBB34_22
; %bb.21:                               ;   in Loop: Header=BB34_4 Depth=1
	v_mov_b32_e32 v9, s41
	v_add_co_u32_e32 v8, vcc, s40, v25
	v_addc_co_u32_e32 v9, vcc, v9, v38, vcc
	v_mov_b32_e32 v10, s41
	v_add_co_u32_e32 v12, vcc, s40, v24
	v_addc_co_u32_e32 v13, vcc, v10, v21, vcc
	global_load_dwordx4 v[8:11], v[8:9], off offset:2048
	s_nop 0
	global_load_dwordx4 v[12:15], v[12:13], off offset:2048
	v_mov_b32_e32 v40, s41
	v_add_co_u32_e32 v39, vcc, s40, v23
	v_addc_co_u32_e32 v40, vcc, v40, v37, vcc
	global_load_dwordx4 v[39:42], v[39:40], off offset:2048
	v_mov_b32_e32 v44, s41
	v_add_co_u32_e32 v43, vcc, s40, v22
	v_addc_co_u32_e32 v44, vcc, v44, v36, vcc
	global_load_dwordx4 v[43:46], v[43:44], off offset:2048
	s_waitcnt vmcnt(3)
	v_cmp_neq_f64_e32 vcc, 0, v[8:9]
	v_cmp_neq_f64_e64 s[10:11], 0, v[10:11]
	v_add_co_u32_e64 v8, s[12:13], 1, v4
	v_addc_co_u32_e64 v9, s[12:13], 0, v5, s[12:13]
	s_waitcnt vmcnt(2)
	v_cmp_neq_f64_e64 s[12:13], 0, v[12:13]
	v_cmp_neq_f64_e64 s[14:15], 0, v[14:15]
	s_waitcnt vmcnt(1)
	v_cmp_neq_f64_e64 s[16:17], 0, v[39:40]
	v_cmp_neq_f64_e64 s[18:19], 0, v[41:42]
	s_or_b64 vcc, vcc, s[10:11]
	v_cndmask_b32_e32 v4, v4, v8, vcc
	v_cndmask_b32_e32 v5, v5, v9, vcc
	v_add_co_u32_e32 v8, vcc, 1, v4
	v_addc_co_u32_e32 v9, vcc, 0, v5, vcc
	s_waitcnt vmcnt(0)
	v_cmp_neq_f64_e64 s[20:21], 0, v[43:44]
	v_cmp_neq_f64_e64 s[22:23], 0, v[45:46]
	s_or_b64 vcc, s[12:13], s[14:15]
	v_cndmask_b32_e32 v4, v4, v8, vcc
	v_cndmask_b32_e32 v5, v5, v9, vcc
	v_add_co_u32_e32 v8, vcc, 1, v4
	v_addc_co_u32_e32 v9, vcc, 0, v5, vcc
	s_or_b64 vcc, s[16:17], s[18:19]
	v_cndmask_b32_e32 v4, v4, v8, vcc
	v_cndmask_b32_e32 v5, v5, v9, vcc
	v_add_co_u32_e32 v8, vcc, 1, v4
	v_addc_co_u32_e32 v9, vcc, 0, v5, vcc
	s_or_b64 vcc, s[20:21], s[22:23]
	v_cndmask_b32_e32 v5, v5, v9, vcc
	v_cndmask_b32_e32 v4, v4, v8, vcc
	v_mov_b32_e32 v15, v7
	v_mov_b32_e32 v14, v6
	;; [unrolled: 1-line block ×8, first 2 shown]
.LBB34_22:                              ;   in Loop: Header=BB34_4 Depth=1
	v_mov_b32_e32 v0, v8
	v_mov_b32_e32 v1, v9
	;; [unrolled: 1-line block ×8, first 2 shown]
	s_or_b64 exec, exec, s[24:25]
	s_and_saveexec_b64 s[22:23], s[2:3]
	s_cbranch_execz .LBB34_3
.LBB34_23:                              ;   in Loop: Header=BB34_4 Depth=1
	s_and_b64 vcc, exec, s[8:9]
	s_mov_b64 s[8:9], -1
                                        ; implicit-def: $vgpr8_vgpr9_vgpr10_vgpr11_vgpr12_vgpr13_vgpr14_vgpr15
	s_cbranch_vccnz .LBB34_25
; %bb.24:                               ;   in Loop: Header=BB34_4 Depth=1
	v_mov_b32_e32 v9, s41
	v_add_co_u32_e32 v8, vcc, s40, v34
	v_addc_co_u32_e32 v9, vcc, v9, v35, vcc
	global_load_dwordx4 v[39:42], v[8:9], off
	global_load_dwordx4 v[43:46], v[8:9], off offset:16
	global_load_dwordx4 v[47:50], v[8:9], off offset:32
	;; [unrolled: 1-line block ×3, first 2 shown]
	v_add_co_u32_e32 v14, vcc, 1, v6
	v_addc_co_u32_e32 v15, vcc, 0, v7, vcc
	v_mov_b32_e32 v8, v0
	v_mov_b32_e32 v9, v1
	;; [unrolled: 1-line block ×6, first 2 shown]
	s_waitcnt vmcnt(3)
	v_cmp_neq_f64_e32 vcc, 0, v[39:40]
	v_cmp_neq_f64_e64 s[8:9], 0, v[41:42]
	s_waitcnt vmcnt(2)
	v_cmp_neq_f64_e64 s[10:11], 0, v[43:44]
	v_cmp_neq_f64_e64 s[12:13], 0, v[45:46]
	s_waitcnt vmcnt(1)
	v_cmp_neq_f64_e64 s[14:15], 0, v[47:48]
	;; [unrolled: 3-line block ×3, first 2 shown]
	v_cmp_neq_f64_e64 s[20:21], 0, v[53:54]
	s_or_b64 vcc, vcc, s[8:9]
	v_cndmask_b32_e32 v14, v6, v14, vcc
	v_cndmask_b32_e32 v15, v7, v15, vcc
	v_add_co_u32_e32 v39, vcc, 1, v14
	v_addc_co_u32_e32 v40, vcc, 0, v15, vcc
	s_or_b64 vcc, s[10:11], s[12:13]
	v_cndmask_b32_e32 v14, v14, v39, vcc
	v_cndmask_b32_e32 v15, v15, v40, vcc
	v_add_co_u32_e32 v39, vcc, 1, v14
	v_addc_co_u32_e32 v40, vcc, 0, v15, vcc
	s_or_b64 vcc, s[14:15], s[16:17]
	v_cndmask_b32_e32 v14, v14, v39, vcc
	v_cndmask_b32_e32 v15, v15, v40, vcc
	v_add_co_u32_e32 v39, vcc, 1, v14
	v_addc_co_u32_e32 v40, vcc, 0, v15, vcc
	s_or_b64 vcc, s[18:19], s[20:21]
	v_cndmask_b32_e32 v15, v15, v40, vcc
	v_cndmask_b32_e32 v14, v14, v39, vcc
	s_mov_b64 s[8:9], 0
.LBB34_25:                              ;   in Loop: Header=BB34_4 Depth=1
	s_andn2_b64 vcc, exec, s[8:9]
	s_cbranch_vccnz .LBB34_2
; %bb.26:                               ;   in Loop: Header=BB34_4 Depth=1
	v_mov_b32_e32 v9, s41
	v_add_co_u32_e32 v8, vcc, s40, v25
	v_addc_co_u32_e32 v9, vcc, v9, v38, vcc
	v_mov_b32_e32 v10, s41
	v_add_co_u32_e32 v12, vcc, s40, v24
	v_addc_co_u32_e32 v13, vcc, v10, v21, vcc
	global_load_dwordx4 v[8:11], v[8:9], off offset:3072
	s_nop 0
	global_load_dwordx4 v[12:15], v[12:13], off offset:3072
	v_mov_b32_e32 v40, s41
	v_add_co_u32_e32 v39, vcc, s40, v23
	v_addc_co_u32_e32 v40, vcc, v40, v37, vcc
	global_load_dwordx4 v[39:42], v[39:40], off offset:3072
	v_mov_b32_e32 v44, s41
	v_add_co_u32_e32 v43, vcc, s40, v22
	v_addc_co_u32_e32 v44, vcc, v44, v36, vcc
	global_load_dwordx4 v[43:46], v[43:44], off offset:3072
	s_waitcnt vmcnt(3)
	v_cmp_neq_f64_e32 vcc, 0, v[8:9]
	v_cmp_neq_f64_e64 s[8:9], 0, v[10:11]
	v_add_co_u32_e64 v8, s[10:11], 1, v6
	v_addc_co_u32_e64 v9, s[10:11], 0, v7, s[10:11]
	s_waitcnt vmcnt(2)
	v_cmp_neq_f64_e64 s[10:11], 0, v[12:13]
	v_cmp_neq_f64_e64 s[12:13], 0, v[14:15]
	s_waitcnt vmcnt(1)
	v_cmp_neq_f64_e64 s[14:15], 0, v[39:40]
	v_cmp_neq_f64_e64 s[16:17], 0, v[41:42]
	s_or_b64 vcc, vcc, s[8:9]
	v_cndmask_b32_e32 v6, v6, v8, vcc
	v_cndmask_b32_e32 v7, v7, v9, vcc
	v_add_co_u32_e32 v8, vcc, 1, v6
	v_addc_co_u32_e32 v9, vcc, 0, v7, vcc
	s_waitcnt vmcnt(0)
	v_cmp_neq_f64_e64 s[18:19], 0, v[43:44]
	v_cmp_neq_f64_e64 s[20:21], 0, v[45:46]
	s_or_b64 vcc, s[10:11], s[12:13]
	v_cndmask_b32_e32 v6, v6, v8, vcc
	v_cndmask_b32_e32 v7, v7, v9, vcc
	v_add_co_u32_e32 v8, vcc, 1, v6
	v_addc_co_u32_e32 v9, vcc, 0, v7, vcc
	s_or_b64 vcc, s[14:15], s[16:17]
	v_cndmask_b32_e32 v6, v6, v8, vcc
	v_cndmask_b32_e32 v7, v7, v9, vcc
	v_add_co_u32_e32 v8, vcc, 1, v6
	v_addc_co_u32_e32 v9, vcc, 0, v7, vcc
	s_or_b64 vcc, s[18:19], s[20:21]
	v_cndmask_b32_e32 v7, v7, v9, vcc
	v_cndmask_b32_e32 v6, v6, v8, vcc
	v_mov_b32_e32 v15, v7
	v_mov_b32_e32 v14, v6
	;; [unrolled: 1-line block ×8, first 2 shown]
	s_branch .LBB34_2
.LBB34_27:
	s_or_b64 exec, exec, s[48:49]
.LBB34_28:
	s_or_b64 exec, exec, s[34:35]
	v_cmp_lt_i64_e64 s[0:1], s[28:29], 1
	s_and_b64 vcc, exec, s[0:1]
	s_cbranch_vccnz .LBB34_126
; %bb.29:
	v_lshlrev_b64 v[8:9], 4, v[16:17]
	v_mov_b32_e32 v10, s41
	v_add_co_u32_e32 v30, vcc, s40, v8
	v_addc_co_u32_e32 v31, vcc, v10, v9, vcc
	s_cmp_eq_u32 s52, 1
	s_cselect_b64 s[4:5], -1, 0
	s_cmp_lg_u32 s52, 1
	v_cmp_gt_i64_e32 vcc, s[36:37], v[18:19]
	v_lshlrev_b64 v[22:23], 4, v[18:19]
	s_cselect_b64 s[2:3], -1, 0
	s_and_saveexec_b64 s[6:7], vcc
	s_cbranch_execz .LBB34_53
; %bb.30:
	v_mad_u64_u32 v[8:9], s[0:1], v18, s42, 0
	v_cmp_gt_i64_e32 vcc, s[38:39], v[16:17]
	v_mad_u64_u32 v[9:10], s[0:1], v18, s43, v[9:10]
	v_mov_b32_e32 v10, s41
	v_lshlrev_b64 v[8:9], 4, v[8:9]
	v_add_co_u32_e64 v24, s[0:1], v30, v8
	v_addc_co_u32_e64 v25, s[0:1], v31, v9, s[0:1]
	v_add_co_u32_e64 v21, s[0:1], s40, v22
	v_addc_co_u32_e64 v32, s[0:1], v10, v23, s[0:1]
	s_and_saveexec_b64 s[8:9], vcc
	s_cbranch_execz .LBB34_34
; %bb.31:
	v_mov_b32_e32 v8, v24
	s_andn2_b64 vcc, exec, s[4:5]
	v_mov_b32_e32 v9, v25
	s_cbranch_vccnz .LBB34_33
; %bb.32:
	v_mul_lo_u32 v10, v17, s42
	v_mul_lo_u32 v11, v16, s43
	v_mad_u64_u32 v[8:9], s[0:1], v16, s42, 0
	v_add3_u32 v9, v9, v11, v10
	v_lshlrev_b64 v[8:9], 4, v[8:9]
	v_add_co_u32_e32 v8, vcc, v21, v8
	v_addc_co_u32_e32 v9, vcc, v32, v9, vcc
.LBB34_33:
	global_load_dwordx4 v[8:11], v[8:9], off
	s_waitcnt vmcnt(0)
	v_cmp_neq_f64_e32 vcc, 0, v[8:9]
	v_cmp_neq_f64_e64 s[0:1], 0, v[10:11]
	s_or_b64 s[0:1], vcc, s[0:1]
	v_cndmask_b32_e64 v8, 0, 1, s[0:1]
	v_add_co_u32_e32 v0, vcc, v0, v8
	v_addc_co_u32_e32 v1, vcc, 0, v1, vcc
.LBB34_34:
	s_or_b64 exec, exec, s[8:9]
	v_or_b32_e32 v26, 1, v16
	v_mov_b32_e32 v27, v17
	v_cmp_gt_i64_e32 vcc, s[38:39], v[26:27]
	s_and_saveexec_b64 s[8:9], vcc
	s_cbranch_execz .LBB34_40
; %bb.35:
	s_andn2_b64 vcc, exec, s[2:3]
	s_cbranch_vccnz .LBB34_37
; %bb.36:
	global_load_dwordx4 v[8:11], v[24:25], off offset:16
	s_waitcnt vmcnt(0)
	v_cmp_neq_f64_e32 vcc, 0, v[8:9]
	v_cmp_neq_f64_e64 s[0:1], 0, v[10:11]
	v_mov_b32_e32 v15, v7
	v_mov_b32_e32 v8, v0
	v_mov_b32_e32 v9, v1
	v_mov_b32_e32 v14, v6
	v_mov_b32_e32 v13, v5
	v_mov_b32_e32 v12, v4
	v_mov_b32_e32 v11, v3
	s_or_b64 s[0:1], vcc, s[0:1]
	v_cndmask_b32_e64 v8, 0, 1, s[0:1]
	v_add_co_u32_e32 v8, vcc, v0, v8
	v_mov_b32_e32 v10, v2
	v_addc_co_u32_e32 v9, vcc, 0, v1, vcc
	s_cbranch_execz .LBB34_38
	s_branch .LBB34_39
.LBB34_37:
                                        ; implicit-def: $vgpr8_vgpr9_vgpr10_vgpr11_vgpr12_vgpr13_vgpr14_vgpr15
.LBB34_38:
	v_mul_lo_u32 v10, v27, s42
	v_mul_lo_u32 v11, v26, s43
	v_mad_u64_u32 v[8:9], s[0:1], v26, s42, 0
	v_add3_u32 v9, v9, v11, v10
	v_lshlrev_b64 v[8:9], 4, v[8:9]
	v_add_co_u32_e32 v8, vcc, v21, v8
	v_addc_co_u32_e32 v9, vcc, v32, v9, vcc
	global_load_dwordx4 v[8:11], v[8:9], off
	s_waitcnt vmcnt(0)
	v_cmp_neq_f64_e32 vcc, 0, v[8:9]
	v_cmp_neq_f64_e64 s[0:1], 0, v[10:11]
	s_or_b64 s[0:1], vcc, s[0:1]
	v_cndmask_b32_e64 v8, 0, 1, s[0:1]
	v_add_co_u32_e32 v0, vcc, v0, v8
	v_addc_co_u32_e32 v1, vcc, 0, v1, vcc
	v_mov_b32_e32 v15, v7
	v_mov_b32_e32 v14, v6
	v_mov_b32_e32 v13, v5
	v_mov_b32_e32 v12, v4
	v_mov_b32_e32 v11, v3
	v_mov_b32_e32 v10, v2
	v_mov_b32_e32 v9, v1
	v_mov_b32_e32 v8, v0
.LBB34_39:
	v_mov_b32_e32 v0, v8
	v_mov_b32_e32 v1, v9
	v_mov_b32_e32 v2, v10
	v_mov_b32_e32 v3, v11
	v_mov_b32_e32 v4, v12
	v_mov_b32_e32 v5, v13
	v_mov_b32_e32 v6, v14
	v_mov_b32_e32 v7, v15
.LBB34_40:
	s_or_b64 exec, exec, s[8:9]
	v_or_b32_e32 v26, 2, v16
	v_mov_b32_e32 v27, v17
	v_cmp_gt_i64_e32 vcc, s[38:39], v[26:27]
	s_and_saveexec_b64 s[8:9], vcc
	s_cbranch_execz .LBB34_46
; %bb.41:
	s_andn2_b64 vcc, exec, s[2:3]
	s_cbranch_vccnz .LBB34_43
; %bb.42:
	global_load_dwordx4 v[8:11], v[24:25], off offset:32
	s_waitcnt vmcnt(0)
	v_cmp_neq_f64_e32 vcc, 0, v[8:9]
	v_cmp_neq_f64_e64 s[0:1], 0, v[10:11]
	v_mov_b32_e32 v15, v7
	v_mov_b32_e32 v8, v0
	v_mov_b32_e32 v9, v1
	v_mov_b32_e32 v14, v6
	v_mov_b32_e32 v13, v5
	v_mov_b32_e32 v12, v4
	v_mov_b32_e32 v11, v3
	s_or_b64 s[0:1], vcc, s[0:1]
	v_cndmask_b32_e64 v8, 0, 1, s[0:1]
	v_add_co_u32_e32 v8, vcc, v0, v8
	v_mov_b32_e32 v10, v2
	v_addc_co_u32_e32 v9, vcc, 0, v1, vcc
	s_cbranch_execz .LBB34_44
	s_branch .LBB34_45
.LBB34_43:
                                        ; implicit-def: $vgpr8_vgpr9_vgpr10_vgpr11_vgpr12_vgpr13_vgpr14_vgpr15
.LBB34_44:
	v_mul_lo_u32 v10, v27, s42
	v_mul_lo_u32 v11, v26, s43
	v_mad_u64_u32 v[8:9], s[0:1], v26, s42, 0
	v_add3_u32 v9, v9, v11, v10
	v_lshlrev_b64 v[8:9], 4, v[8:9]
	v_add_co_u32_e32 v8, vcc, v21, v8
	v_addc_co_u32_e32 v9, vcc, v32, v9, vcc
	global_load_dwordx4 v[8:11], v[8:9], off
	s_waitcnt vmcnt(0)
	v_cmp_neq_f64_e32 vcc, 0, v[8:9]
	v_cmp_neq_f64_e64 s[0:1], 0, v[10:11]
	s_or_b64 s[0:1], vcc, s[0:1]
	v_cndmask_b32_e64 v8, 0, 1, s[0:1]
	v_add_co_u32_e32 v0, vcc, v0, v8
	v_addc_co_u32_e32 v1, vcc, 0, v1, vcc
	v_mov_b32_e32 v15, v7
	v_mov_b32_e32 v14, v6
	v_mov_b32_e32 v13, v5
	v_mov_b32_e32 v12, v4
	v_mov_b32_e32 v11, v3
	v_mov_b32_e32 v10, v2
	v_mov_b32_e32 v9, v1
	v_mov_b32_e32 v8, v0
.LBB34_45:
	v_mov_b32_e32 v0, v8
	v_mov_b32_e32 v1, v9
	v_mov_b32_e32 v2, v10
	v_mov_b32_e32 v3, v11
	v_mov_b32_e32 v4, v12
	v_mov_b32_e32 v5, v13
	v_mov_b32_e32 v6, v14
	v_mov_b32_e32 v7, v15
.LBB34_46:
	;; [unrolled: 64-line block ×3, first 2 shown]
	s_or_b64 exec, exec, s[8:9]
.LBB34_53:
	s_or_b64 exec, exec, s[6:7]
	v_mov_b32_e32 v21, v19
	v_cmp_gt_i64_e32 vcc, s[36:37], v[20:21]
	s_and_saveexec_b64 s[6:7], vcc
	s_cbranch_execz .LBB34_77
; %bb.54:
	v_mad_u64_u32 v[8:9], s[0:1], v20, s42, 0
	v_cmp_gt_i64_e32 vcc, s[38:39], v[16:17]
	v_mad_u64_u32 v[9:10], s[0:1], v20, s43, v[9:10]
	v_mov_b32_e32 v10, s41
	v_lshlrev_b64 v[8:9], 4, v[8:9]
	v_add_co_u32_e64 v20, s[0:1], v30, v8
	v_addc_co_u32_e64 v21, s[0:1], v31, v9, s[0:1]
	v_add_co_u32_e64 v26, s[0:1], s40, v22
	v_addc_co_u32_e64 v27, s[0:1], v10, v23, s[0:1]
	s_and_saveexec_b64 s[8:9], vcc
	s_cbranch_execz .LBB34_58
; %bb.55:
	v_mov_b32_e32 v8, v20
	s_andn2_b64 vcc, exec, s[4:5]
	v_mov_b32_e32 v9, v21
	s_cbranch_vccnz .LBB34_57
; %bb.56:
	v_mul_lo_u32 v10, v17, s42
	v_mul_lo_u32 v11, v16, s43
	v_mad_u64_u32 v[8:9], s[0:1], v16, s42, 0
	v_add3_u32 v9, v9, v11, v10
	v_lshlrev_b64 v[8:9], 4, v[8:9]
	v_add_co_u32_e32 v8, vcc, v26, v8
	v_addc_co_u32_e32 v9, vcc, v27, v9, vcc
	v_add_co_u32_e32 v8, vcc, 0x400, v8
	v_addc_co_u32_e32 v9, vcc, 0, v9, vcc
.LBB34_57:
	global_load_dwordx4 v[8:11], v[8:9], off
	s_waitcnt vmcnt(0)
	v_cmp_neq_f64_e32 vcc, 0, v[8:9]
	v_cmp_neq_f64_e64 s[0:1], 0, v[10:11]
	s_or_b64 s[0:1], vcc, s[0:1]
	v_cndmask_b32_e64 v8, 0, 1, s[0:1]
	v_add_co_u32_e32 v2, vcc, v2, v8
	v_addc_co_u32_e32 v3, vcc, 0, v3, vcc
.LBB34_58:
	s_or_b64 exec, exec, s[8:9]
	v_or_b32_e32 v24, 1, v16
	v_mov_b32_e32 v25, v17
	v_cmp_gt_i64_e32 vcc, s[38:39], v[24:25]
	s_and_saveexec_b64 s[8:9], vcc
	s_cbranch_execz .LBB34_64
; %bb.59:
	s_andn2_b64 vcc, exec, s[2:3]
	s_cbranch_vccnz .LBB34_61
; %bb.60:
	global_load_dwordx4 v[8:11], v[20:21], off offset:16
	s_waitcnt vmcnt(0)
	v_cmp_neq_f64_e32 vcc, 0, v[8:9]
	v_cmp_neq_f64_e64 s[0:1], 0, v[10:11]
	v_mov_b32_e32 v15, v7
	v_mov_b32_e32 v10, v2
	v_mov_b32_e32 v11, v3
	v_mov_b32_e32 v14, v6
	v_mov_b32_e32 v13, v5
	v_mov_b32_e32 v12, v4
	v_mov_b32_e32 v9, v1
	s_or_b64 s[0:1], vcc, s[0:1]
	v_cndmask_b32_e64 v10, 0, 1, s[0:1]
	v_add_co_u32_e32 v10, vcc, v2, v10
	v_mov_b32_e32 v8, v0
	v_addc_co_u32_e32 v11, vcc, 0, v3, vcc
	s_cbranch_execz .LBB34_62
	s_branch .LBB34_63
.LBB34_61:
                                        ; implicit-def: $vgpr8_vgpr9_vgpr10_vgpr11_vgpr12_vgpr13_vgpr14_vgpr15
.LBB34_62:
	v_mul_lo_u32 v10, v25, s42
	v_mul_lo_u32 v11, v24, s43
	v_mad_u64_u32 v[8:9], s[0:1], v24, s42, 0
	v_add3_u32 v9, v9, v11, v10
	v_lshlrev_b64 v[8:9], 4, v[8:9]
	v_add_co_u32_e32 v8, vcc, v26, v8
	v_addc_co_u32_e32 v9, vcc, v27, v9, vcc
	global_load_dwordx4 v[8:11], v[8:9], off offset:1024
	s_waitcnt vmcnt(0)
	v_cmp_neq_f64_e32 vcc, 0, v[8:9]
	v_cmp_neq_f64_e64 s[0:1], 0, v[10:11]
	s_or_b64 s[0:1], vcc, s[0:1]
	v_cndmask_b32_e64 v8, 0, 1, s[0:1]
	v_add_co_u32_e32 v2, vcc, v2, v8
	v_addc_co_u32_e32 v3, vcc, 0, v3, vcc
	v_mov_b32_e32 v15, v7
	v_mov_b32_e32 v14, v6
	v_mov_b32_e32 v13, v5
	v_mov_b32_e32 v12, v4
	v_mov_b32_e32 v11, v3
	v_mov_b32_e32 v10, v2
	v_mov_b32_e32 v9, v1
	v_mov_b32_e32 v8, v0
.LBB34_63:
	v_mov_b32_e32 v0, v8
	v_mov_b32_e32 v1, v9
	v_mov_b32_e32 v2, v10
	v_mov_b32_e32 v3, v11
	v_mov_b32_e32 v4, v12
	v_mov_b32_e32 v5, v13
	v_mov_b32_e32 v6, v14
	v_mov_b32_e32 v7, v15
.LBB34_64:
	s_or_b64 exec, exec, s[8:9]
	v_or_b32_e32 v24, 2, v16
	v_mov_b32_e32 v25, v17
	v_cmp_gt_i64_e32 vcc, s[38:39], v[24:25]
	s_and_saveexec_b64 s[8:9], vcc
	s_cbranch_execz .LBB34_70
; %bb.65:
	s_andn2_b64 vcc, exec, s[2:3]
	s_cbranch_vccnz .LBB34_67
; %bb.66:
	global_load_dwordx4 v[8:11], v[20:21], off offset:32
	s_waitcnt vmcnt(0)
	v_cmp_neq_f64_e32 vcc, 0, v[8:9]
	v_cmp_neq_f64_e64 s[0:1], 0, v[10:11]
	v_mov_b32_e32 v15, v7
	v_mov_b32_e32 v10, v2
	v_mov_b32_e32 v11, v3
	v_mov_b32_e32 v14, v6
	v_mov_b32_e32 v13, v5
	v_mov_b32_e32 v12, v4
	v_mov_b32_e32 v9, v1
	s_or_b64 s[0:1], vcc, s[0:1]
	v_cndmask_b32_e64 v10, 0, 1, s[0:1]
	v_add_co_u32_e32 v10, vcc, v2, v10
	v_mov_b32_e32 v8, v0
	v_addc_co_u32_e32 v11, vcc, 0, v3, vcc
	s_cbranch_execz .LBB34_68
	s_branch .LBB34_69
.LBB34_67:
                                        ; implicit-def: $vgpr8_vgpr9_vgpr10_vgpr11_vgpr12_vgpr13_vgpr14_vgpr15
.LBB34_68:
	v_mul_lo_u32 v10, v25, s42
	v_mul_lo_u32 v11, v24, s43
	v_mad_u64_u32 v[8:9], s[0:1], v24, s42, 0
	v_add3_u32 v9, v9, v11, v10
	v_lshlrev_b64 v[8:9], 4, v[8:9]
	v_add_co_u32_e32 v8, vcc, v26, v8
	v_addc_co_u32_e32 v9, vcc, v27, v9, vcc
	global_load_dwordx4 v[8:11], v[8:9], off offset:1024
	s_waitcnt vmcnt(0)
	v_cmp_neq_f64_e32 vcc, 0, v[8:9]
	v_cmp_neq_f64_e64 s[0:1], 0, v[10:11]
	s_or_b64 s[0:1], vcc, s[0:1]
	v_cndmask_b32_e64 v8, 0, 1, s[0:1]
	v_add_co_u32_e32 v2, vcc, v2, v8
	v_addc_co_u32_e32 v3, vcc, 0, v3, vcc
	v_mov_b32_e32 v15, v7
	v_mov_b32_e32 v14, v6
	v_mov_b32_e32 v13, v5
	v_mov_b32_e32 v12, v4
	v_mov_b32_e32 v11, v3
	v_mov_b32_e32 v10, v2
	v_mov_b32_e32 v9, v1
	v_mov_b32_e32 v8, v0
.LBB34_69:
	v_mov_b32_e32 v0, v8
	v_mov_b32_e32 v1, v9
	v_mov_b32_e32 v2, v10
	v_mov_b32_e32 v3, v11
	v_mov_b32_e32 v4, v12
	v_mov_b32_e32 v5, v13
	v_mov_b32_e32 v6, v14
	v_mov_b32_e32 v7, v15
.LBB34_70:
	;; [unrolled: 64-line block ×3, first 2 shown]
	s_or_b64 exec, exec, s[8:9]
.LBB34_77:
	s_or_b64 exec, exec, s[6:7]
	v_or_b32_e32 v8, 0x80, v18
	v_mov_b32_e32 v9, v19
	v_cmp_gt_i64_e32 vcc, s[36:37], v[8:9]
	s_and_saveexec_b64 s[6:7], vcc
	s_cbranch_execz .LBB34_101
; %bb.78:
	v_mad_u64_u32 v[9:10], s[0:1], v8, s42, 0
	v_cmp_gt_i64_e32 vcc, s[38:39], v[16:17]
	v_mad_u64_u32 v[10:11], s[0:1], v8, s43, v[10:11]
	v_mov_b32_e32 v11, s41
	v_lshlrev_b64 v[8:9], 4, v[9:10]
	v_add_co_u32_e64 v20, s[0:1], v30, v8
	v_addc_co_u32_e64 v21, s[0:1], v31, v9, s[0:1]
	v_add_co_u32_e64 v26, s[0:1], s40, v22
	v_addc_co_u32_e64 v27, s[0:1], v11, v23, s[0:1]
	s_and_saveexec_b64 s[8:9], vcc
	s_cbranch_execz .LBB34_82
; %bb.79:
	v_mov_b32_e32 v8, v20
	s_andn2_b64 vcc, exec, s[4:5]
	v_mov_b32_e32 v9, v21
	s_cbranch_vccnz .LBB34_81
; %bb.80:
	v_mul_lo_u32 v10, v17, s42
	v_mul_lo_u32 v11, v16, s43
	v_mad_u64_u32 v[8:9], s[0:1], v16, s42, 0
	v_add3_u32 v9, v9, v11, v10
	v_lshlrev_b64 v[8:9], 4, v[8:9]
	v_add_co_u32_e32 v8, vcc, v26, v8
	v_addc_co_u32_e32 v9, vcc, v27, v9, vcc
	v_add_co_u32_e32 v8, vcc, 0x800, v8
	v_addc_co_u32_e32 v9, vcc, 0, v9, vcc
.LBB34_81:
	global_load_dwordx4 v[8:11], v[8:9], off
	s_waitcnt vmcnt(0)
	v_cmp_neq_f64_e32 vcc, 0, v[8:9]
	v_cmp_neq_f64_e64 s[0:1], 0, v[10:11]
	s_or_b64 s[0:1], vcc, s[0:1]
	v_cndmask_b32_e64 v8, 0, 1, s[0:1]
	v_add_co_u32_e32 v4, vcc, v4, v8
	v_addc_co_u32_e32 v5, vcc, 0, v5, vcc
.LBB34_82:
	s_or_b64 exec, exec, s[8:9]
	v_or_b32_e32 v24, 1, v16
	v_mov_b32_e32 v25, v17
	v_cmp_gt_i64_e32 vcc, s[38:39], v[24:25]
	s_and_saveexec_b64 s[8:9], vcc
	s_cbranch_execz .LBB34_88
; %bb.83:
	s_andn2_b64 vcc, exec, s[2:3]
	s_cbranch_vccnz .LBB34_85
; %bb.84:
	global_load_dwordx4 v[8:11], v[20:21], off offset:16
	s_waitcnt vmcnt(0)
	v_cmp_neq_f64_e32 vcc, 0, v[8:9]
	v_cmp_neq_f64_e64 s[0:1], 0, v[10:11]
	v_mov_b32_e32 v15, v7
	v_mov_b32_e32 v12, v4
	v_mov_b32_e32 v13, v5
	v_mov_b32_e32 v14, v6
	v_mov_b32_e32 v11, v3
	v_mov_b32_e32 v10, v2
	v_mov_b32_e32 v9, v1
	s_or_b64 s[0:1], vcc, s[0:1]
	v_cndmask_b32_e64 v12, 0, 1, s[0:1]
	v_add_co_u32_e32 v12, vcc, v4, v12
	v_mov_b32_e32 v8, v0
	v_addc_co_u32_e32 v13, vcc, 0, v5, vcc
	s_cbranch_execz .LBB34_86
	s_branch .LBB34_87
.LBB34_85:
                                        ; implicit-def: $vgpr8_vgpr9_vgpr10_vgpr11_vgpr12_vgpr13_vgpr14_vgpr15
.LBB34_86:
	v_mul_lo_u32 v10, v25, s42
	v_mul_lo_u32 v11, v24, s43
	v_mad_u64_u32 v[8:9], s[0:1], v24, s42, 0
	v_add3_u32 v9, v9, v11, v10
	v_lshlrev_b64 v[8:9], 4, v[8:9]
	v_add_co_u32_e32 v8, vcc, v26, v8
	v_addc_co_u32_e32 v9, vcc, v27, v9, vcc
	global_load_dwordx4 v[8:11], v[8:9], off offset:2048
	s_waitcnt vmcnt(0)
	v_cmp_neq_f64_e32 vcc, 0, v[8:9]
	v_cmp_neq_f64_e64 s[0:1], 0, v[10:11]
	s_or_b64 s[0:1], vcc, s[0:1]
	v_cndmask_b32_e64 v8, 0, 1, s[0:1]
	v_add_co_u32_e32 v4, vcc, v4, v8
	v_addc_co_u32_e32 v5, vcc, 0, v5, vcc
	v_mov_b32_e32 v15, v7
	v_mov_b32_e32 v14, v6
	v_mov_b32_e32 v13, v5
	v_mov_b32_e32 v12, v4
	v_mov_b32_e32 v11, v3
	v_mov_b32_e32 v10, v2
	v_mov_b32_e32 v9, v1
	v_mov_b32_e32 v8, v0
.LBB34_87:
	v_mov_b32_e32 v0, v8
	v_mov_b32_e32 v1, v9
	v_mov_b32_e32 v2, v10
	v_mov_b32_e32 v3, v11
	v_mov_b32_e32 v4, v12
	v_mov_b32_e32 v5, v13
	v_mov_b32_e32 v6, v14
	v_mov_b32_e32 v7, v15
.LBB34_88:
	s_or_b64 exec, exec, s[8:9]
	v_or_b32_e32 v24, 2, v16
	v_mov_b32_e32 v25, v17
	v_cmp_gt_i64_e32 vcc, s[38:39], v[24:25]
	s_and_saveexec_b64 s[8:9], vcc
	s_cbranch_execz .LBB34_94
; %bb.89:
	s_andn2_b64 vcc, exec, s[2:3]
	s_cbranch_vccnz .LBB34_91
; %bb.90:
	global_load_dwordx4 v[8:11], v[20:21], off offset:32
	s_waitcnt vmcnt(0)
	v_cmp_neq_f64_e32 vcc, 0, v[8:9]
	v_cmp_neq_f64_e64 s[0:1], 0, v[10:11]
	v_mov_b32_e32 v15, v7
	v_mov_b32_e32 v12, v4
	v_mov_b32_e32 v13, v5
	v_mov_b32_e32 v14, v6
	v_mov_b32_e32 v11, v3
	v_mov_b32_e32 v10, v2
	v_mov_b32_e32 v9, v1
	s_or_b64 s[0:1], vcc, s[0:1]
	v_cndmask_b32_e64 v12, 0, 1, s[0:1]
	v_add_co_u32_e32 v12, vcc, v4, v12
	v_mov_b32_e32 v8, v0
	v_addc_co_u32_e32 v13, vcc, 0, v5, vcc
	s_cbranch_execz .LBB34_92
	s_branch .LBB34_93
.LBB34_91:
                                        ; implicit-def: $vgpr8_vgpr9_vgpr10_vgpr11_vgpr12_vgpr13_vgpr14_vgpr15
.LBB34_92:
	v_mul_lo_u32 v10, v25, s42
	v_mul_lo_u32 v11, v24, s43
	v_mad_u64_u32 v[8:9], s[0:1], v24, s42, 0
	v_add3_u32 v9, v9, v11, v10
	v_lshlrev_b64 v[8:9], 4, v[8:9]
	v_add_co_u32_e32 v8, vcc, v26, v8
	v_addc_co_u32_e32 v9, vcc, v27, v9, vcc
	global_load_dwordx4 v[8:11], v[8:9], off offset:2048
	s_waitcnt vmcnt(0)
	v_cmp_neq_f64_e32 vcc, 0, v[8:9]
	v_cmp_neq_f64_e64 s[0:1], 0, v[10:11]
	s_or_b64 s[0:1], vcc, s[0:1]
	v_cndmask_b32_e64 v8, 0, 1, s[0:1]
	v_add_co_u32_e32 v4, vcc, v4, v8
	v_addc_co_u32_e32 v5, vcc, 0, v5, vcc
	v_mov_b32_e32 v15, v7
	v_mov_b32_e32 v14, v6
	v_mov_b32_e32 v13, v5
	v_mov_b32_e32 v12, v4
	v_mov_b32_e32 v11, v3
	v_mov_b32_e32 v10, v2
	v_mov_b32_e32 v9, v1
	v_mov_b32_e32 v8, v0
.LBB34_93:
	v_mov_b32_e32 v0, v8
	v_mov_b32_e32 v1, v9
	v_mov_b32_e32 v2, v10
	v_mov_b32_e32 v3, v11
	v_mov_b32_e32 v4, v12
	v_mov_b32_e32 v5, v13
	v_mov_b32_e32 v6, v14
	v_mov_b32_e32 v7, v15
.LBB34_94:
	;; [unrolled: 64-line block ×3, first 2 shown]
	s_or_b64 exec, exec, s[8:9]
.LBB34_101:
	s_or_b64 exec, exec, s[6:7]
	v_or_b32_e32 v18, 0xc0, v18
	v_cmp_gt_i64_e32 vcc, s[36:37], v[18:19]
	s_and_saveexec_b64 s[6:7], vcc
	s_cbranch_execz .LBB34_125
; %bb.102:
	v_mad_u64_u32 v[8:9], s[0:1], v18, s42, 0
	v_cmp_gt_i64_e32 vcc, s[38:39], v[16:17]
	v_mad_u64_u32 v[9:10], s[0:1], v18, s43, v[9:10]
	v_mov_b32_e32 v10, s41
	v_lshlrev_b64 v[8:9], 4, v[8:9]
	v_add_co_u32_e64 v18, s[0:1], v30, v8
	v_addc_co_u32_e64 v19, s[0:1], v31, v9, s[0:1]
	v_add_co_u32_e64 v22, s[0:1], s40, v22
	v_addc_co_u32_e64 v23, s[0:1], v10, v23, s[0:1]
	s_and_saveexec_b64 s[8:9], vcc
	s_cbranch_execz .LBB34_106
; %bb.103:
	v_mov_b32_e32 v8, v18
	s_andn2_b64 vcc, exec, s[4:5]
	v_mov_b32_e32 v9, v19
	s_cbranch_vccnz .LBB34_105
; %bb.104:
	v_mul_lo_u32 v10, v17, s42
	v_mul_lo_u32 v11, v16, s43
	v_mad_u64_u32 v[8:9], s[0:1], v16, s42, 0
	v_add3_u32 v9, v9, v11, v10
	v_lshlrev_b64 v[8:9], 4, v[8:9]
	v_add_co_u32_e32 v8, vcc, v22, v8
	v_addc_co_u32_e32 v9, vcc, v23, v9, vcc
	v_add_co_u32_e32 v8, vcc, 0xc00, v8
	v_addc_co_u32_e32 v9, vcc, 0, v9, vcc
.LBB34_105:
	global_load_dwordx4 v[8:11], v[8:9], off
	s_waitcnt vmcnt(0)
	v_cmp_neq_f64_e32 vcc, 0, v[8:9]
	v_cmp_neq_f64_e64 s[0:1], 0, v[10:11]
	s_or_b64 s[0:1], vcc, s[0:1]
	v_cndmask_b32_e64 v8, 0, 1, s[0:1]
	v_add_co_u32_e32 v6, vcc, v6, v8
	v_addc_co_u32_e32 v7, vcc, 0, v7, vcc
.LBB34_106:
	s_or_b64 exec, exec, s[8:9]
	v_or_b32_e32 v20, 1, v16
	v_mov_b32_e32 v21, v17
	v_cmp_gt_i64_e32 vcc, s[38:39], v[20:21]
	v_cndmask_b32_e64 v8, 0, 1, s[2:3]
	v_cmp_ne_u32_e64 s[0:1], 1, v8
	s_and_saveexec_b64 s[4:5], vcc
	s_cbranch_execz .LBB34_112
; %bb.107:
	s_and_b64 vcc, exec, s[0:1]
	s_cbranch_vccnz .LBB34_109
; %bb.108:
	global_load_dwordx4 v[8:11], v[18:19], off offset:16
	s_waitcnt vmcnt(0)
	v_cmp_neq_f64_e32 vcc, 0, v[8:9]
	v_cmp_neq_f64_e64 s[2:3], 0, v[10:11]
	v_mov_b32_e32 v15, v7
	v_mov_b32_e32 v14, v6
	;; [unrolled: 1-line block ×7, first 2 shown]
	s_or_b64 s[2:3], vcc, s[2:3]
	v_cndmask_b32_e64 v14, 0, 1, s[2:3]
	v_add_co_u32_e32 v14, vcc, v6, v14
	v_mov_b32_e32 v8, v0
	v_addc_co_u32_e32 v15, vcc, 0, v7, vcc
	s_cbranch_execz .LBB34_110
	s_branch .LBB34_111
.LBB34_109:
                                        ; implicit-def: $vgpr8_vgpr9_vgpr10_vgpr11_vgpr12_vgpr13_vgpr14_vgpr15
.LBB34_110:
	v_mul_lo_u32 v10, v21, s42
	v_mul_lo_u32 v11, v20, s43
	v_mad_u64_u32 v[8:9], s[2:3], v20, s42, 0
	v_add3_u32 v9, v9, v11, v10
	v_lshlrev_b64 v[8:9], 4, v[8:9]
	v_add_co_u32_e32 v8, vcc, v22, v8
	v_addc_co_u32_e32 v9, vcc, v23, v9, vcc
	global_load_dwordx4 v[8:11], v[8:9], off offset:3072
	s_waitcnt vmcnt(0)
	v_cmp_neq_f64_e32 vcc, 0, v[8:9]
	v_cmp_neq_f64_e64 s[2:3], 0, v[10:11]
	s_or_b64 s[2:3], vcc, s[2:3]
	v_cndmask_b32_e64 v8, 0, 1, s[2:3]
	v_add_co_u32_e32 v6, vcc, v6, v8
	v_addc_co_u32_e32 v7, vcc, 0, v7, vcc
	v_mov_b32_e32 v15, v7
	v_mov_b32_e32 v14, v6
	;; [unrolled: 1-line block ×8, first 2 shown]
.LBB34_111:
	v_mov_b32_e32 v0, v8
	v_mov_b32_e32 v1, v9
	;; [unrolled: 1-line block ×8, first 2 shown]
.LBB34_112:
	s_or_b64 exec, exec, s[4:5]
	v_or_b32_e32 v20, 2, v16
	v_mov_b32_e32 v21, v17
	v_cmp_gt_i64_e32 vcc, s[38:39], v[20:21]
	s_and_saveexec_b64 s[4:5], vcc
	s_cbranch_execz .LBB34_118
; %bb.113:
	s_and_b64 vcc, exec, s[0:1]
	s_cbranch_vccnz .LBB34_115
; %bb.114:
	global_load_dwordx4 v[8:11], v[18:19], off offset:32
	s_waitcnt vmcnt(0)
	v_cmp_neq_f64_e32 vcc, 0, v[8:9]
	v_cmp_neq_f64_e64 s[2:3], 0, v[10:11]
	v_mov_b32_e32 v15, v7
	v_mov_b32_e32 v14, v6
	;; [unrolled: 1-line block ×7, first 2 shown]
	s_or_b64 s[2:3], vcc, s[2:3]
	v_cndmask_b32_e64 v14, 0, 1, s[2:3]
	v_add_co_u32_e32 v14, vcc, v6, v14
	v_mov_b32_e32 v8, v0
	v_addc_co_u32_e32 v15, vcc, 0, v7, vcc
	s_cbranch_execz .LBB34_116
	s_branch .LBB34_117
.LBB34_115:
                                        ; implicit-def: $vgpr8_vgpr9_vgpr10_vgpr11_vgpr12_vgpr13_vgpr14_vgpr15
.LBB34_116:
	v_mul_lo_u32 v10, v21, s42
	v_mul_lo_u32 v11, v20, s43
	v_mad_u64_u32 v[8:9], s[2:3], v20, s42, 0
	v_add3_u32 v9, v9, v11, v10
	v_lshlrev_b64 v[8:9], 4, v[8:9]
	v_add_co_u32_e32 v8, vcc, v22, v8
	v_addc_co_u32_e32 v9, vcc, v23, v9, vcc
	global_load_dwordx4 v[8:11], v[8:9], off offset:3072
	s_waitcnt vmcnt(0)
	v_cmp_neq_f64_e32 vcc, 0, v[8:9]
	v_cmp_neq_f64_e64 s[2:3], 0, v[10:11]
	s_or_b64 s[2:3], vcc, s[2:3]
	v_cndmask_b32_e64 v8, 0, 1, s[2:3]
	v_add_co_u32_e32 v6, vcc, v6, v8
	v_addc_co_u32_e32 v7, vcc, 0, v7, vcc
	v_mov_b32_e32 v15, v7
	v_mov_b32_e32 v14, v6
	;; [unrolled: 1-line block ×8, first 2 shown]
.LBB34_117:
	v_mov_b32_e32 v0, v8
	v_mov_b32_e32 v1, v9
	;; [unrolled: 1-line block ×8, first 2 shown]
.LBB34_118:
	s_or_b64 exec, exec, s[4:5]
	v_or_b32_e32 v16, 3, v16
	v_cmp_gt_i64_e32 vcc, s[38:39], v[16:17]
	s_and_saveexec_b64 s[2:3], vcc
	s_cbranch_execz .LBB34_124
; %bb.119:
	s_and_b64 vcc, exec, s[0:1]
	s_cbranch_vccnz .LBB34_121
; %bb.120:
	global_load_dwordx4 v[8:11], v[18:19], off offset:48
	s_waitcnt vmcnt(0)
	v_cmp_neq_f64_e32 vcc, 0, v[8:9]
	v_cmp_neq_f64_e64 s[0:1], 0, v[10:11]
	v_mov_b32_e32 v15, v7
	v_mov_b32_e32 v14, v6
	;; [unrolled: 1-line block ×7, first 2 shown]
	s_or_b64 s[0:1], vcc, s[0:1]
	v_cndmask_b32_e64 v14, 0, 1, s[0:1]
	v_add_co_u32_e32 v14, vcc, v6, v14
	v_mov_b32_e32 v8, v0
	v_addc_co_u32_e32 v15, vcc, 0, v7, vcc
	s_cbranch_execz .LBB34_122
	s_branch .LBB34_123
.LBB34_121:
                                        ; implicit-def: $vgpr8_vgpr9_vgpr10_vgpr11_vgpr12_vgpr13_vgpr14_vgpr15
.LBB34_122:
	v_mul_lo_u32 v10, v17, s42
	v_mul_lo_u32 v11, v16, s43
	v_mad_u64_u32 v[8:9], s[0:1], v16, s42, 0
	v_add3_u32 v9, v9, v11, v10
	v_lshlrev_b64 v[8:9], 4, v[8:9]
	v_add_co_u32_e32 v8, vcc, v22, v8
	v_addc_co_u32_e32 v9, vcc, v23, v9, vcc
	global_load_dwordx4 v[8:11], v[8:9], off offset:3072
	s_waitcnt vmcnt(0)
	v_cmp_neq_f64_e32 vcc, 0, v[8:9]
	v_cmp_neq_f64_e64 s[0:1], 0, v[10:11]
	s_or_b64 s[0:1], vcc, s[0:1]
	v_cndmask_b32_e64 v8, 0, 1, s[0:1]
	v_add_co_u32_e32 v6, vcc, v6, v8
	v_addc_co_u32_e32 v7, vcc, 0, v7, vcc
	v_mov_b32_e32 v15, v7
	v_mov_b32_e32 v14, v6
	;; [unrolled: 1-line block ×8, first 2 shown]
.LBB34_123:
	v_mov_b32_e32 v0, v8
	v_mov_b32_e32 v1, v9
	;; [unrolled: 1-line block ×8, first 2 shown]
.LBB34_124:
	s_or_b64 exec, exec, s[2:3]
.LBB34_125:
	s_or_b64 exec, exec, s[6:7]
.LBB34_126:
	v_lshlrev_b32_e32 v8, 5, v28
	v_lshlrev_b32_e32 v9, 3, v29
	s_movk_i32 s0, 0xf800
	v_and_or_b32 v8, v8, s0, v9
	s_movk_i32 s0, 0x100
	v_cmp_gt_u32_e32 vcc, s0, v28
	ds_write2st64_b64 v8, v[0:1], v[2:3] offset1:1
	ds_write2st64_b64 v8, v[4:5], v[6:7] offset0:2 offset1:3
	s_waitcnt lgkmcnt(0)
	s_barrier
	s_and_saveexec_b64 s[0:1], vcc
	s_cbranch_execz .LBB34_129
; %bb.127:
	v_lshlrev_b32_e32 v10, 3, v28
	ds_read2st64_b64 v[2:5], v10 offset1:4
	ds_read2st64_b64 v[6:9], v10 offset0:8 offset1:12
	v_add_co_u32_e32 v0, vcc, s33, v28
	v_addc_co_u32_e64 v1, s[0:1], 0, 0, vcc
	s_waitcnt lgkmcnt(1)
	v_add_co_u32_e32 v2, vcc, v2, v4
	v_addc_co_u32_e32 v3, vcc, v3, v5, vcc
	s_waitcnt lgkmcnt(0)
	v_add_co_u32_e32 v6, vcc, v2, v6
	v_addc_co_u32_e32 v7, vcc, v3, v7, vcc
	ds_read2st64_b64 v[2:5], v10 offset0:16 offset1:20
	v_add_co_u32_e32 v6, vcc, v6, v8
	v_addc_co_u32_e32 v7, vcc, v7, v9, vcc
	s_waitcnt lgkmcnt(0)
	v_add_co_u32_e32 v2, vcc, v6, v2
	v_addc_co_u32_e32 v3, vcc, v7, v3, vcc
	ds_read2st64_b64 v[6:9], v10 offset0:24 offset1:28
	;; [unrolled: 6-line block ×6, first 2 shown]
	v_add_co_u32_e32 v2, vcc, v2, v4
	v_addc_co_u32_e32 v3, vcc, v3, v5, vcc
	s_waitcnt lgkmcnt(0)
	v_add_co_u32_e32 v2, vcc, v2, v6
	v_addc_co_u32_e32 v3, vcc, v3, v7, vcc
	v_add_co_u32_e32 v2, vcc, v2, v8
	v_addc_co_u32_e32 v3, vcc, v3, v9, vcc
	v_cmp_gt_i64_e32 vcc, s[36:37], v[0:1]
	ds_write_b64 v10, v[2:3]
	s_and_b64 exec, exec, vcc
	s_cbranch_execz .LBB34_129
; %bb.128:
	v_lshlrev_b64 v[0:1], 3, v[0:1]
	v_mov_b32_e32 v4, s27
	v_add_co_u32_e32 v0, vcc, s26, v0
	v_addc_co_u32_e32 v1, vcc, v4, v1, vcc
	global_store_dwordx2 v[0:1], v[2:3], off
.LBB34_129:
	s_endpgm
	.section	.rodata,"a",@progbits
	.p2align	6, 0x0
	.amdhsa_kernel _ZN9rocsparseL14nnz_kernel_rowILi64ELi16Ell21rocsparse_complex_numIdEEEv16rocsparse_order_T2_S4_PKT3_lPT1_
		.amdhsa_group_segment_fixed_size 32768
		.amdhsa_private_segment_fixed_size 0
		.amdhsa_kernarg_size 304
		.amdhsa_user_sgpr_count 6
		.amdhsa_user_sgpr_private_segment_buffer 1
		.amdhsa_user_sgpr_dispatch_ptr 0
		.amdhsa_user_sgpr_queue_ptr 0
		.amdhsa_user_sgpr_kernarg_segment_ptr 1
		.amdhsa_user_sgpr_dispatch_id 0
		.amdhsa_user_sgpr_flat_scratch_init 0
		.amdhsa_user_sgpr_private_segment_size 0
		.amdhsa_uses_dynamic_stack 0
		.amdhsa_system_sgpr_private_segment_wavefront_offset 0
		.amdhsa_system_sgpr_workgroup_id_x 1
		.amdhsa_system_sgpr_workgroup_id_y 0
		.amdhsa_system_sgpr_workgroup_id_z 0
		.amdhsa_system_sgpr_workgroup_info 0
		.amdhsa_system_vgpr_workitem_id 1
		.amdhsa_next_free_vgpr 55
		.amdhsa_next_free_sgpr 61
		.amdhsa_reserve_vcc 1
		.amdhsa_reserve_flat_scratch 0
		.amdhsa_float_round_mode_32 0
		.amdhsa_float_round_mode_16_64 0
		.amdhsa_float_denorm_mode_32 3
		.amdhsa_float_denorm_mode_16_64 3
		.amdhsa_dx10_clamp 1
		.amdhsa_ieee_mode 1
		.amdhsa_fp16_overflow 0
		.amdhsa_exception_fp_ieee_invalid_op 0
		.amdhsa_exception_fp_denorm_src 0
		.amdhsa_exception_fp_ieee_div_zero 0
		.amdhsa_exception_fp_ieee_overflow 0
		.amdhsa_exception_fp_ieee_underflow 0
		.amdhsa_exception_fp_ieee_inexact 0
		.amdhsa_exception_int_div_zero 0
	.end_amdhsa_kernel
	.section	.text._ZN9rocsparseL14nnz_kernel_rowILi64ELi16Ell21rocsparse_complex_numIdEEEv16rocsparse_order_T2_S4_PKT3_lPT1_,"axG",@progbits,_ZN9rocsparseL14nnz_kernel_rowILi64ELi16Ell21rocsparse_complex_numIdEEEv16rocsparse_order_T2_S4_PKT3_lPT1_,comdat
.Lfunc_end34:
	.size	_ZN9rocsparseL14nnz_kernel_rowILi64ELi16Ell21rocsparse_complex_numIdEEEv16rocsparse_order_T2_S4_PKT3_lPT1_, .Lfunc_end34-_ZN9rocsparseL14nnz_kernel_rowILi64ELi16Ell21rocsparse_complex_numIdEEEv16rocsparse_order_T2_S4_PKT3_lPT1_
                                        ; -- End function
	.set _ZN9rocsparseL14nnz_kernel_rowILi64ELi16Ell21rocsparse_complex_numIdEEEv16rocsparse_order_T2_S4_PKT3_lPT1_.num_vgpr, 55
	.set _ZN9rocsparseL14nnz_kernel_rowILi64ELi16Ell21rocsparse_complex_numIdEEEv16rocsparse_order_T2_S4_PKT3_lPT1_.num_agpr, 0
	.set _ZN9rocsparseL14nnz_kernel_rowILi64ELi16Ell21rocsparse_complex_numIdEEEv16rocsparse_order_T2_S4_PKT3_lPT1_.numbered_sgpr, 53
	.set _ZN9rocsparseL14nnz_kernel_rowILi64ELi16Ell21rocsparse_complex_numIdEEEv16rocsparse_order_T2_S4_PKT3_lPT1_.num_named_barrier, 0
	.set _ZN9rocsparseL14nnz_kernel_rowILi64ELi16Ell21rocsparse_complex_numIdEEEv16rocsparse_order_T2_S4_PKT3_lPT1_.private_seg_size, 0
	.set _ZN9rocsparseL14nnz_kernel_rowILi64ELi16Ell21rocsparse_complex_numIdEEEv16rocsparse_order_T2_S4_PKT3_lPT1_.uses_vcc, 1
	.set _ZN9rocsparseL14nnz_kernel_rowILi64ELi16Ell21rocsparse_complex_numIdEEEv16rocsparse_order_T2_S4_PKT3_lPT1_.uses_flat_scratch, 0
	.set _ZN9rocsparseL14nnz_kernel_rowILi64ELi16Ell21rocsparse_complex_numIdEEEv16rocsparse_order_T2_S4_PKT3_lPT1_.has_dyn_sized_stack, 0
	.set _ZN9rocsparseL14nnz_kernel_rowILi64ELi16Ell21rocsparse_complex_numIdEEEv16rocsparse_order_T2_S4_PKT3_lPT1_.has_recursion, 0
	.set _ZN9rocsparseL14nnz_kernel_rowILi64ELi16Ell21rocsparse_complex_numIdEEEv16rocsparse_order_T2_S4_PKT3_lPT1_.has_indirect_call, 0
	.section	.AMDGPU.csdata,"",@progbits
; Kernel info:
; codeLenInByte = 7692
; TotalNumSgprs: 57
; NumVgprs: 55
; ScratchSize: 0
; MemoryBound: 0
; FloatMode: 240
; IeeeMode: 1
; LDSByteSize: 32768 bytes/workgroup (compile time only)
; SGPRBlocks: 8
; VGPRBlocks: 13
; NumSGPRsForWavesPerEU: 65
; NumVGPRsForWavesPerEU: 55
; Occupancy: 4
; WaveLimiterHint : 0
; COMPUTE_PGM_RSRC2:SCRATCH_EN: 0
; COMPUTE_PGM_RSRC2:USER_SGPR: 6
; COMPUTE_PGM_RSRC2:TRAP_HANDLER: 0
; COMPUTE_PGM_RSRC2:TGID_X_EN: 1
; COMPUTE_PGM_RSRC2:TGID_Y_EN: 0
; COMPUTE_PGM_RSRC2:TGID_Z_EN: 0
; COMPUTE_PGM_RSRC2:TIDIG_COMP_CNT: 1
	.section	.text._ZN9rocsparseL14nnz_kernel_colILi256Ell21rocsparse_complex_numIdEEEv16rocsparse_order_T1_S4_PKT2_lPT0_,"axG",@progbits,_ZN9rocsparseL14nnz_kernel_colILi256Ell21rocsparse_complex_numIdEEEv16rocsparse_order_T1_S4_PKT2_lPT0_,comdat
	.globl	_ZN9rocsparseL14nnz_kernel_colILi256Ell21rocsparse_complex_numIdEEEv16rocsparse_order_T1_S4_PKT2_lPT0_ ; -- Begin function _ZN9rocsparseL14nnz_kernel_colILi256Ell21rocsparse_complex_numIdEEEv16rocsparse_order_T1_S4_PKT2_lPT0_
	.p2align	8
	.type	_ZN9rocsparseL14nnz_kernel_colILi256Ell21rocsparse_complex_numIdEEEv16rocsparse_order_T1_S4_PKT2_lPT0_,@function
_ZN9rocsparseL14nnz_kernel_colILi256Ell21rocsparse_complex_numIdEEEv16rocsparse_order_T1_S4_PKT2_lPT0_: ; @_ZN9rocsparseL14nnz_kernel_colILi256Ell21rocsparse_complex_numIdEEEv16rocsparse_order_T1_S4_PKT2_lPT0_
; %bb.0:
	s_load_dwordx2 s[12:13], s[4:5], 0x8
	s_load_dword s0, s[4:5], 0x0
	s_load_dwordx4 s[8:11], s[4:5], 0x18
	s_mov_b32 s7, 0
	v_mov_b32_e32 v1, 0
	s_waitcnt lgkmcnt(0)
	s_ashr_i32 s1, s13, 31
	s_lshr_b32 s1, s1, 24
	s_add_u32 s1, s12, s1
	s_addc_u32 s15, s13, 0
	s_and_b32 s14, s1, 0xffffff00
	s_cmp_eq_u32 s0, 1
	s_cbranch_scc1 .LBB35_6
; %bb.1:
	v_mov_b32_e32 v2, 0x100
	v_mov_b32_e32 v3, 0
	v_cmp_lt_i64_e32 vcc, s[12:13], v[2:3]
	v_mov_b32_e32 v2, 0
	v_mov_b32_e32 v3, 0
	s_cbranch_vccnz .LBB35_7
; %bb.2:
	v_mad_u64_u32 v[2:3], s[0:1], s10, v0, 0
	s_lshl_b64 s[0:1], s[6:7], 4
	s_add_u32 s0, s8, s0
	v_mad_u64_u32 v[3:4], s[2:3], s11, v0, v[3:4]
	s_addc_u32 s1, s9, s1
	v_mov_b32_e32 v4, s1
	v_lshlrev_b64 v[2:3], 4, v[2:3]
	s_lshl_b64 s[2:3], s[10:11], 12
	v_add_co_u32_e32 v2, vcc, s0, v2
	v_addc_co_u32_e32 v3, vcc, v4, v3, vcc
	v_add_co_u32_e32 v4, vcc, 8, v2
	v_addc_co_u32_e32 v5, vcc, 0, v3, vcc
	v_mov_b32_e32 v2, 0
	s_mov_b64 s[16:17], 0
	v_mov_b32_e32 v3, 0
	v_mov_b32_e32 v6, s3
	s_branch .LBB35_4
.LBB35_3:                               ;   in Loop: Header=BB35_4 Depth=1
	s_or_b64 exec, exec, s[18:19]
	s_add_u32 s16, s16, 0x100
	v_mov_b32_e32 v7, s14
	s_addc_u32 s17, s17, 0
	v_mov_b32_e32 v8, s15
	v_cmp_ge_i64_e32 vcc, s[16:17], v[7:8]
	v_add_co_u32_e64 v4, s[0:1], s2, v4
	v_addc_co_u32_e64 v5, s[0:1], v5, v6, s[0:1]
	s_cbranch_vccnz .LBB35_7
.LBB35_4:                               ; =>This Inner Loop Header: Depth=1
	v_mov_b32_e32 v8, s17
	v_add_co_u32_e32 v7, vcc, s16, v0
	v_addc_co_u32_e32 v8, vcc, 0, v8, vcc
	v_cmp_gt_i64_e32 vcc, s[12:13], v[7:8]
	s_and_saveexec_b64 s[18:19], vcc
	s_cbranch_execz .LBB35_3
; %bb.5:                                ;   in Loop: Header=BB35_4 Depth=1
	global_load_dwordx4 v[7:10], v[4:5], off offset:-8
	s_waitcnt vmcnt(0)
	v_cmp_neq_f64_e32 vcc, 0, v[7:8]
	v_cmp_neq_f64_e64 s[0:1], 0, v[9:10]
	s_or_b64 s[0:1], vcc, s[0:1]
	v_cndmask_b32_e64 v7, 0, 1, s[0:1]
	v_add_co_u32_e32 v2, vcc, v2, v7
	v_addc_co_u32_e32 v3, vcc, 0, v3, vcc
	s_branch .LBB35_3
.LBB35_6:
	s_mov_b64 s[16:17], 0
                                        ; implicit-def: $vgpr2_vgpr3
                                        ; implicit-def: $vgpr6_vgpr7
	s_cbranch_execnz .LBB35_10
	s_branch .LBB35_16
.LBB35_7:
	v_mov_b32_e32 v5, s15
	v_add_co_u32_e32 v4, vcc, s14, v0
	v_addc_co_u32_e32 v5, vcc, 0, v5, vcc
	v_cmp_gt_i64_e32 vcc, s[12:13], v[4:5]
	s_mov_b64 s[0:1], 0
	s_mov_b64 s[16:17], 0
                                        ; implicit-def: $vgpr6_vgpr7
	s_and_saveexec_b64 s[2:3], vcc
	s_xor_b64 s[2:3], exec, s[2:3]
	s_cbranch_execz .LBB35_9
; %bb.8:
	v_mul_lo_u32 v6, v5, s10
	v_mul_lo_u32 v7, v4, s11
	v_mad_u64_u32 v[4:5], s[18:19], v4, s10, 0
	s_lshl_b64 s[18:19], s[6:7], 4
	s_mov_b64 s[16:17], exec
	v_add3_u32 v5, v5, v7, v6
	v_lshlrev_b64 v[4:5], 4, v[4:5]
	v_mov_b32_e32 v6, s9
	v_add_co_u32_e32 v4, vcc, s8, v4
	v_addc_co_u32_e32 v5, vcc, v6, v5, vcc
	v_mov_b32_e32 v7, s19
	v_add_co_u32_e32 v6, vcc, s18, v4
	v_addc_co_u32_e32 v7, vcc, v5, v7, vcc
.LBB35_9:
	s_or_b64 exec, exec, s[2:3]
	s_and_b64 vcc, exec, s[0:1]
	s_cbranch_vccz .LBB35_16
.LBB35_10:
	v_mov_b32_e32 v2, 0x100
	v_cmp_gt_i64_e32 vcc, s[12:13], v[0:1]
	v_mov_b32_e32 v3, 0
	v_mov_b32_e32 v5, 0
	v_cndmask_b32_e32 v4, 0, v0, vcc
	v_cmp_lt_i64_e32 vcc, s[12:13], v[2:3]
	s_mul_i32 s0, s11, s6
	s_mul_hi_u32 s1, s10, s6
	v_mov_b32_e32 v2, 0
	v_lshlrev_b64 v[4:5], 4, v[4:5]
	s_add_i32 s11, s1, s0
	s_mul_i32 s10, s10, s6
	v_mov_b32_e32 v3, 0
	s_cbranch_vccnz .LBB35_13
; %bb.11:
	s_lshl_b64 s[0:1], s[10:11], 4
	s_add_u32 s0, s8, s0
	s_addc_u32 s1, s9, s1
	v_mov_b32_e32 v1, s1
	v_add_co_u32_e32 v2, vcc, s0, v4
	v_addc_co_u32_e32 v1, vcc, v1, v5, vcc
	v_add_co_u32_e32 v6, vcc, 8, v2
	v_mov_b32_e32 v2, 0
	v_mov_b32_e32 v8, s14
	v_addc_co_u32_e32 v7, vcc, 0, v1, vcc
	s_mov_b64 s[18:19], 0
	v_mov_b32_e32 v3, 0
	v_mov_b32_e32 v9, s15
.LBB35_12:                              ; =>This Inner Loop Header: Depth=1
	global_load_dwordx4 v[10:13], v[6:7], off offset:-8
	v_add_co_u32_e32 v6, vcc, 0x1000, v6
	v_addc_co_u32_e32 v7, vcc, 0, v7, vcc
	s_waitcnt vmcnt(0)
	v_cmp_neq_f64_e64 s[0:1], 0, v[10:11]
	v_cmp_neq_f64_e64 s[2:3], 0, v[12:13]
	s_or_b64 s[0:1], s[0:1], s[2:3]
	s_add_u32 s18, s18, 0x100
	v_cndmask_b32_e64 v1, 0, 1, s[0:1]
	s_addc_u32 s19, s19, 0
	v_add_co_u32_e32 v2, vcc, v2, v1
	v_cmp_ge_i64_e64 s[0:1], s[18:19], v[8:9]
	v_addc_co_u32_e32 v3, vcc, 0, v3, vcc
	s_and_b64 vcc, exec, s[0:1]
	s_cbranch_vccz .LBB35_12
.LBB35_13:
	v_mov_b32_e32 v1, s15
	v_add_co_u32_e32 v6, vcc, s14, v0
	v_addc_co_u32_e32 v7, vcc, 0, v1, vcc
	v_cmp_gt_i64_e32 vcc, s[12:13], v[6:7]
                                        ; implicit-def: $vgpr6_vgpr7
	s_and_saveexec_b64 s[0:1], vcc
	s_cbranch_execz .LBB35_15
; %bb.14:
	s_lshl_b64 s[2:3], s[10:11], 4
	s_add_u32 s2, s8, s2
	s_addc_u32 s3, s9, s3
	v_mov_b32_e32 v1, s3
	v_add_co_u32_e32 v4, vcc, s2, v4
	v_addc_co_u32_e32 v1, vcc, v1, v5, vcc
	s_lshl_b64 s[2:3], s[14:15], 4
	v_mov_b32_e32 v5, s3
	v_add_co_u32_e32 v6, vcc, s2, v4
	v_addc_co_u32_e32 v7, vcc, v1, v5, vcc
	s_or_b64 s[16:17], s[16:17], exec
.LBB35_15:
	s_or_b64 exec, exec, s[0:1]
.LBB35_16:
	s_and_saveexec_b64 s[2:3], s[16:17]
	s_cbranch_execz .LBB35_18
; %bb.17:
	global_load_dwordx4 v[4:7], v[6:7], off
	s_waitcnt vmcnt(0)
	v_cmp_neq_f64_e32 vcc, 0, v[4:5]
	v_cmp_neq_f64_e64 s[0:1], 0, v[6:7]
	s_or_b64 s[0:1], vcc, s[0:1]
	v_cndmask_b32_e64 v1, 0, 1, s[0:1]
	v_add_co_u32_e32 v2, vcc, v2, v1
	v_addc_co_u32_e32 v3, vcc, 0, v3, vcc
.LBB35_18:
	s_or_b64 exec, exec, s[2:3]
	v_mov_b32_e32 v5, 0x100
	v_mov_b32_e32 v6, 0
	v_cmp_lt_i64_e32 vcc, s[12:13], v[5:6]
	v_lshlrev_b32_e32 v4, 3, v0
	s_mov_b64 s[2:3], -1
	v_cmp_eq_u32_e64 s[0:1], 0, v0
	ds_write_b64 v4, v[2:3]
	s_waitcnt lgkmcnt(0)
	s_cbranch_vccnz .LBB35_22
; %bb.19:
	s_and_b64 vcc, exec, s[2:3]
	s_cbranch_vccnz .LBB35_31
.LBB35_20:
	v_cmp_eq_u32_e32 vcc, 0, v0
	s_and_saveexec_b64 s[0:1], vcc
	s_cbranch_execnz .LBB35_48
.LBB35_21:
	s_endpgm
.LBB35_22:
	v_cmp_gt_i64_e64 s[2:3], s[12:13], 1
	s_mov_b64 s[8:9], 1
	s_and_b64 s[2:3], s[0:1], s[2:3]
	s_barrier
	s_and_saveexec_b64 s[0:1], s[2:3]
	s_cbranch_execz .LBB35_30
; %bb.23:
	s_add_u32 s9, s12, -1
	v_mov_b32_e32 v1, 0
	s_addc_u32 s3, s13, -1
	ds_read_b64 v[1:2], v1
	s_add_u32 s10, s12, -2
	s_addc_u32 s11, s13, -1
	v_cmp_lt_u64_e64 s[10:11], s[10:11], 7
	s_and_b64 vcc, exec, s[10:11]
	s_cbranch_vccnz .LBB35_26
; %bb.24:
	s_and_b32 s2, s9, -8
	s_mov_b64 s[10:11], 0
	s_mov_b32 s12, 8
.LBB35_25:                              ; =>This Inner Loop Header: Depth=1
	v_mov_b32_e32 v3, s12
	ds_read2_b64 v[5:8], v3 offset1:1
	ds_read2_b64 v[9:12], v3 offset0:2 offset1:3
	ds_read2_b64 v[13:16], v3 offset0:4 offset1:5
	ds_read2_b64 v[17:20], v3 offset0:6 offset1:7
	s_add_u32 s14, s10, 8
	s_waitcnt lgkmcnt(3)
	v_add_co_u32_e32 v1, vcc, v1, v5
	v_addc_co_u32_e32 v2, vcc, v2, v6, vcc
	v_add_co_u32_e32 v1, vcc, v1, v7
	v_addc_co_u32_e32 v2, vcc, v2, v8, vcc
	s_waitcnt lgkmcnt(2)
	v_add_co_u32_e32 v1, vcc, v1, v9
	v_addc_co_u32_e32 v2, vcc, v2, v10, vcc
	v_add_co_u32_e32 v1, vcc, v1, v11
	v_addc_co_u32_e32 v2, vcc, v2, v12, vcc
	;; [unrolled: 5-line block ×3, first 2 shown]
	s_waitcnt lgkmcnt(0)
	v_add_co_u32_e32 v1, vcc, v1, v17
	v_addc_co_u32_e32 v2, vcc, v2, v18, vcc
	s_addc_u32 s15, s11, 0
	s_add_i32 s12, s12, 64
	s_add_u32 s8, s10, 9
	v_add_co_u32_e32 v1, vcc, v1, v19
	s_cmp_lg_u64 s[2:3], s[14:15]
	s_mov_b64 s[10:11], s[14:15]
	v_addc_co_u32_e32 v2, vcc, v2, v20, vcc
	s_cbranch_scc1 .LBB35_25
.LBB35_26:
	s_and_b32 s2, s9, 7
	s_mov_b32 s3, 0
	s_cmp_eq_u64 s[2:3], 0
	s_cbranch_scc1 .LBB35_29
; %bb.27:
	s_lshl_b32 s8, s8, 3
.LBB35_28:                              ; =>This Inner Loop Header: Depth=1
	v_mov_b32_e32 v3, s8
	ds_read_b64 v[5:6], v3
	s_add_i32 s8, s8, 8
	s_add_u32 s2, s2, -1
	s_addc_u32 s3, s3, -1
	s_cmp_lg_u64 s[2:3], 0
	s_waitcnt lgkmcnt(0)
	v_add_co_u32_e32 v1, vcc, v1, v5
	v_addc_co_u32_e32 v2, vcc, v2, v6, vcc
	s_cbranch_scc1 .LBB35_28
.LBB35_29:
	v_mov_b32_e32 v3, 0
	s_waitcnt lgkmcnt(0)
	ds_write_b64 v3, v[1:2]
.LBB35_30:
	s_or_b64 exec, exec, s[0:1]
	s_waitcnt lgkmcnt(0)
	s_barrier
	s_branch .LBB35_20
.LBB35_31:
	s_movk_i32 s0, 0x80
	v_cmp_gt_u32_e32 vcc, s0, v0
	s_barrier
	s_and_saveexec_b64 s[0:1], vcc
	s_cbranch_execz .LBB35_33
; %bb.32:
	ds_read2st64_b64 v[5:8], v4 offset1:2
	s_waitcnt lgkmcnt(0)
	v_add_co_u32_e32 v1, vcc, v5, v7
	v_addc_co_u32_e32 v2, vcc, v6, v8, vcc
	ds_write_b64 v4, v[1:2]
.LBB35_33:
	s_or_b64 exec, exec, s[0:1]
	v_cmp_gt_u32_e32 vcc, 64, v0
	s_waitcnt lgkmcnt(0)
	s_barrier
	s_and_saveexec_b64 s[0:1], vcc
	s_cbranch_execz .LBB35_35
; %bb.34:
	ds_read2st64_b64 v[5:8], v4 offset1:1
	s_waitcnt lgkmcnt(0)
	v_add_co_u32_e32 v1, vcc, v5, v7
	v_addc_co_u32_e32 v2, vcc, v6, v8, vcc
	ds_write_b64 v4, v[1:2]
.LBB35_35:
	s_or_b64 exec, exec, s[0:1]
	v_cmp_gt_u32_e32 vcc, 32, v0
	s_waitcnt lgkmcnt(0)
	s_barrier
	s_and_saveexec_b64 s[0:1], vcc
	s_cbranch_execz .LBB35_37
; %bb.36:
	ds_read2_b64 v[5:8], v4 offset1:32
	s_waitcnt lgkmcnt(0)
	v_add_co_u32_e32 v1, vcc, v5, v7
	v_addc_co_u32_e32 v2, vcc, v6, v8, vcc
	ds_write_b64 v4, v[1:2]
.LBB35_37:
	s_or_b64 exec, exec, s[0:1]
	v_cmp_gt_u32_e32 vcc, 16, v0
	s_waitcnt lgkmcnt(0)
	s_barrier
	s_and_saveexec_b64 s[0:1], vcc
	s_cbranch_execz .LBB35_39
; %bb.38:
	ds_read2_b64 v[5:8], v4 offset1:16
	s_waitcnt lgkmcnt(0)
	v_add_co_u32_e32 v1, vcc, v5, v7
	v_addc_co_u32_e32 v2, vcc, v6, v8, vcc
	ds_write_b64 v4, v[1:2]
.LBB35_39:
	;; [unrolled: 13-line block ×5, first 2 shown]
	s_or_b64 exec, exec, s[0:1]
	v_cmp_eq_u32_e32 vcc, 0, v0
	s_waitcnt lgkmcnt(0)
	s_barrier
	s_and_saveexec_b64 s[0:1], vcc
	s_cbranch_execz .LBB35_47
; %bb.46:
	v_mov_b32_e32 v5, 0
	ds_read_b128 v[1:4], v5
	s_waitcnt lgkmcnt(0)
	v_add_co_u32_e32 v1, vcc, v1, v3
	v_addc_co_u32_e32 v2, vcc, v2, v4, vcc
	ds_write_b64 v5, v[1:2]
.LBB35_47:
	s_or_b64 exec, exec, s[0:1]
	s_waitcnt lgkmcnt(0)
	s_barrier
	v_cmp_eq_u32_e32 vcc, 0, v0
	s_and_saveexec_b64 s[0:1], vcc
	s_cbranch_execz .LBB35_21
.LBB35_48:
	s_load_dwordx2 s[0:1], s[4:5], 0x28
	v_mov_b32_e32 v2, 0
	ds_read_b64 v[0:1], v2
	s_lshl_b64 s[2:3], s[6:7], 3
	s_waitcnt lgkmcnt(0)
	s_add_u32 s0, s0, s2
	s_addc_u32 s1, s1, s3
	global_store_dwordx2 v2, v[0:1], s[0:1]
	s_endpgm
	.section	.rodata,"a",@progbits
	.p2align	6, 0x0
	.amdhsa_kernel _ZN9rocsparseL14nnz_kernel_colILi256Ell21rocsparse_complex_numIdEEEv16rocsparse_order_T1_S4_PKT2_lPT0_
		.amdhsa_group_segment_fixed_size 2048
		.amdhsa_private_segment_fixed_size 0
		.amdhsa_kernarg_size 48
		.amdhsa_user_sgpr_count 6
		.amdhsa_user_sgpr_private_segment_buffer 1
		.amdhsa_user_sgpr_dispatch_ptr 0
		.amdhsa_user_sgpr_queue_ptr 0
		.amdhsa_user_sgpr_kernarg_segment_ptr 1
		.amdhsa_user_sgpr_dispatch_id 0
		.amdhsa_user_sgpr_flat_scratch_init 0
		.amdhsa_user_sgpr_private_segment_size 0
		.amdhsa_uses_dynamic_stack 0
		.amdhsa_system_sgpr_private_segment_wavefront_offset 0
		.amdhsa_system_sgpr_workgroup_id_x 1
		.amdhsa_system_sgpr_workgroup_id_y 0
		.amdhsa_system_sgpr_workgroup_id_z 0
		.amdhsa_system_sgpr_workgroup_info 0
		.amdhsa_system_vgpr_workitem_id 0
		.amdhsa_next_free_vgpr 21
		.amdhsa_next_free_sgpr 20
		.amdhsa_reserve_vcc 1
		.amdhsa_reserve_flat_scratch 0
		.amdhsa_float_round_mode_32 0
		.amdhsa_float_round_mode_16_64 0
		.amdhsa_float_denorm_mode_32 3
		.amdhsa_float_denorm_mode_16_64 3
		.amdhsa_dx10_clamp 1
		.amdhsa_ieee_mode 1
		.amdhsa_fp16_overflow 0
		.amdhsa_exception_fp_ieee_invalid_op 0
		.amdhsa_exception_fp_denorm_src 0
		.amdhsa_exception_fp_ieee_div_zero 0
		.amdhsa_exception_fp_ieee_overflow 0
		.amdhsa_exception_fp_ieee_underflow 0
		.amdhsa_exception_fp_ieee_inexact 0
		.amdhsa_exception_int_div_zero 0
	.end_amdhsa_kernel
	.section	.text._ZN9rocsparseL14nnz_kernel_colILi256Ell21rocsparse_complex_numIdEEEv16rocsparse_order_T1_S4_PKT2_lPT0_,"axG",@progbits,_ZN9rocsparseL14nnz_kernel_colILi256Ell21rocsparse_complex_numIdEEEv16rocsparse_order_T1_S4_PKT2_lPT0_,comdat
.Lfunc_end35:
	.size	_ZN9rocsparseL14nnz_kernel_colILi256Ell21rocsparse_complex_numIdEEEv16rocsparse_order_T1_S4_PKT2_lPT0_, .Lfunc_end35-_ZN9rocsparseL14nnz_kernel_colILi256Ell21rocsparse_complex_numIdEEEv16rocsparse_order_T1_S4_PKT2_lPT0_
                                        ; -- End function
	.set _ZN9rocsparseL14nnz_kernel_colILi256Ell21rocsparse_complex_numIdEEEv16rocsparse_order_T1_S4_PKT2_lPT0_.num_vgpr, 21
	.set _ZN9rocsparseL14nnz_kernel_colILi256Ell21rocsparse_complex_numIdEEEv16rocsparse_order_T1_S4_PKT2_lPT0_.num_agpr, 0
	.set _ZN9rocsparseL14nnz_kernel_colILi256Ell21rocsparse_complex_numIdEEEv16rocsparse_order_T1_S4_PKT2_lPT0_.numbered_sgpr, 20
	.set _ZN9rocsparseL14nnz_kernel_colILi256Ell21rocsparse_complex_numIdEEEv16rocsparse_order_T1_S4_PKT2_lPT0_.num_named_barrier, 0
	.set _ZN9rocsparseL14nnz_kernel_colILi256Ell21rocsparse_complex_numIdEEEv16rocsparse_order_T1_S4_PKT2_lPT0_.private_seg_size, 0
	.set _ZN9rocsparseL14nnz_kernel_colILi256Ell21rocsparse_complex_numIdEEEv16rocsparse_order_T1_S4_PKT2_lPT0_.uses_vcc, 1
	.set _ZN9rocsparseL14nnz_kernel_colILi256Ell21rocsparse_complex_numIdEEEv16rocsparse_order_T1_S4_PKT2_lPT0_.uses_flat_scratch, 0
	.set _ZN9rocsparseL14nnz_kernel_colILi256Ell21rocsparse_complex_numIdEEEv16rocsparse_order_T1_S4_PKT2_lPT0_.has_dyn_sized_stack, 0
	.set _ZN9rocsparseL14nnz_kernel_colILi256Ell21rocsparse_complex_numIdEEEv16rocsparse_order_T1_S4_PKT2_lPT0_.has_recursion, 0
	.set _ZN9rocsparseL14nnz_kernel_colILi256Ell21rocsparse_complex_numIdEEEv16rocsparse_order_T1_S4_PKT2_lPT0_.has_indirect_call, 0
	.section	.AMDGPU.csdata,"",@progbits
; Kernel info:
; codeLenInByte = 1644
; TotalNumSgprs: 24
; NumVgprs: 21
; ScratchSize: 0
; MemoryBound: 0
; FloatMode: 240
; IeeeMode: 1
; LDSByteSize: 2048 bytes/workgroup (compile time only)
; SGPRBlocks: 2
; VGPRBlocks: 5
; NumSGPRsForWavesPerEU: 24
; NumVGPRsForWavesPerEU: 21
; Occupancy: 10
; WaveLimiterHint : 0
; COMPUTE_PGM_RSRC2:SCRATCH_EN: 0
; COMPUTE_PGM_RSRC2:USER_SGPR: 6
; COMPUTE_PGM_RSRC2:TRAP_HANDLER: 0
; COMPUTE_PGM_RSRC2:TGID_X_EN: 1
; COMPUTE_PGM_RSRC2:TGID_Y_EN: 0
; COMPUTE_PGM_RSRC2:TGID_Z_EN: 0
; COMPUTE_PGM_RSRC2:TIDIG_COMP_CNT: 0
	.section	.AMDGPU.gpr_maximums,"",@progbits
	.set amdgpu.max_num_vgpr, 0
	.set amdgpu.max_num_agpr, 0
	.set amdgpu.max_num_sgpr, 0
	.section	.AMDGPU.csdata,"",@progbits
	.type	__hip_cuid_9a197812b42e4d0a,@object ; @__hip_cuid_9a197812b42e4d0a
	.section	.bss,"aw",@nobits
	.globl	__hip_cuid_9a197812b42e4d0a
__hip_cuid_9a197812b42e4d0a:
	.byte	0                               ; 0x0
	.size	__hip_cuid_9a197812b42e4d0a, 1

	.ident	"AMD clang version 22.0.0git (https://github.com/RadeonOpenCompute/llvm-project roc-7.2.4 26084 f58b06dce1f9c15707c5f808fd002e18c2accf7e)"
	.section	".note.GNU-stack","",@progbits
	.addrsig
	.addrsig_sym __hip_cuid_9a197812b42e4d0a
	.amdgpu_metadata
---
amdhsa.kernels:
  - .args:
      - .offset:         0
        .size:           4
        .value_kind:     by_value
      - .offset:         4
        .size:           4
        .value_kind:     by_value
      - .offset:         8
        .size:           4
        .value_kind:     by_value
      - .actual_access:  read_only
        .address_space:  global
        .offset:         16
        .size:           8
        .value_kind:     global_buffer
      - .offset:         24
        .size:           8
        .value_kind:     by_value
      - .actual_access:  write_only
        .address_space:  global
        .offset:         32
        .size:           8
        .value_kind:     global_buffer
      - .offset:         40
        .size:           4
        .value_kind:     hidden_block_count_x
      - .offset:         44
        .size:           4
        .value_kind:     hidden_block_count_y
      - .offset:         48
        .size:           4
        .value_kind:     hidden_block_count_z
      - .offset:         52
        .size:           2
        .value_kind:     hidden_group_size_x
      - .offset:         54
        .size:           2
        .value_kind:     hidden_group_size_y
      - .offset:         56
        .size:           2
        .value_kind:     hidden_group_size_z
      - .offset:         58
        .size:           2
        .value_kind:     hidden_remainder_x
      - .offset:         60
        .size:           2
        .value_kind:     hidden_remainder_y
      - .offset:         62
        .size:           2
        .value_kind:     hidden_remainder_z
      - .offset:         80
        .size:           8
        .value_kind:     hidden_global_offset_x
      - .offset:         88
        .size:           8
        .value_kind:     hidden_global_offset_y
      - .offset:         96
        .size:           8
        .value_kind:     hidden_global_offset_z
      - .offset:         104
        .size:           2
        .value_kind:     hidden_grid_dims
    .group_segment_fixed_size: 16384
    .kernarg_segment_align: 8
    .kernarg_segment_size: 296
    .language:       OpenCL C
    .language_version:
      - 2
      - 0
    .max_flat_workgroup_size: 1024
    .name:           _ZN9rocsparseL14nnz_kernel_rowILi64ELi16EiiDF16_EEv16rocsparse_order_T2_S2_PKT3_lPT1_
    .private_segment_fixed_size: 0
    .sgpr_count:     38
    .sgpr_spill_count: 0
    .symbol:         _ZN9rocsparseL14nnz_kernel_rowILi64ELi16EiiDF16_EEv16rocsparse_order_T2_S2_PKT3_lPT1_.kd
    .uniform_work_group_size: 1
    .uses_dynamic_stack: false
    .vgpr_count:     31
    .vgpr_spill_count: 0
    .wavefront_size: 64
  - .args:
      - .offset:         0
        .size:           4
        .value_kind:     by_value
      - .offset:         4
        .size:           4
        .value_kind:     by_value
      - .offset:         8
        .size:           4
        .value_kind:     by_value
      - .actual_access:  read_only
        .address_space:  global
        .offset:         16
        .size:           8
        .value_kind:     global_buffer
      - .offset:         24
        .size:           8
        .value_kind:     by_value
      - .actual_access:  write_only
        .address_space:  global
        .offset:         32
        .size:           8
        .value_kind:     global_buffer
    .group_segment_fixed_size: 1024
    .kernarg_segment_align: 8
    .kernarg_segment_size: 40
    .language:       OpenCL C
    .language_version:
      - 2
      - 0
    .max_flat_workgroup_size: 256
    .name:           _ZN9rocsparseL14nnz_kernel_colILi256EiiDF16_EEv16rocsparse_order_T1_S2_PKT2_lPT0_
    .private_segment_fixed_size: 0
    .sgpr_count:     20
    .sgpr_spill_count: 0
    .symbol:         _ZN9rocsparseL14nnz_kernel_colILi256EiiDF16_EEv16rocsparse_order_T1_S2_PKT2_lPT0_.kd
    .uniform_work_group_size: 1
    .uses_dynamic_stack: false
    .vgpr_count:     11
    .vgpr_spill_count: 0
    .wavefront_size: 64
  - .args:
      - .offset:         0
        .size:           4
        .value_kind:     by_value
      - .offset:         4
        .size:           4
        .value_kind:     by_value
      - .offset:         8
        .size:           4
        .value_kind:     by_value
      - .actual_access:  read_only
        .address_space:  global
        .offset:         16
        .size:           8
        .value_kind:     global_buffer
      - .offset:         24
        .size:           8
        .value_kind:     by_value
      - .actual_access:  write_only
        .address_space:  global
        .offset:         32
        .size:           8
        .value_kind:     global_buffer
      - .offset:         40
        .size:           4
        .value_kind:     hidden_block_count_x
      - .offset:         44
        .size:           4
        .value_kind:     hidden_block_count_y
      - .offset:         48
        .size:           4
        .value_kind:     hidden_block_count_z
      - .offset:         52
        .size:           2
        .value_kind:     hidden_group_size_x
      - .offset:         54
        .size:           2
        .value_kind:     hidden_group_size_y
      - .offset:         56
        .size:           2
        .value_kind:     hidden_group_size_z
      - .offset:         58
        .size:           2
        .value_kind:     hidden_remainder_x
      - .offset:         60
        .size:           2
        .value_kind:     hidden_remainder_y
      - .offset:         62
        .size:           2
        .value_kind:     hidden_remainder_z
      - .offset:         80
        .size:           8
        .value_kind:     hidden_global_offset_x
      - .offset:         88
        .size:           8
        .value_kind:     hidden_global_offset_y
      - .offset:         96
        .size:           8
        .value_kind:     hidden_global_offset_z
      - .offset:         104
        .size:           2
        .value_kind:     hidden_grid_dims
    .group_segment_fixed_size: 16384
    .kernarg_segment_align: 8
    .kernarg_segment_size: 296
    .language:       OpenCL C
    .language_version:
      - 2
      - 0
    .max_flat_workgroup_size: 1024
    .name:           _ZN9rocsparseL14nnz_kernel_rowILi64ELi16Eii18rocsparse_bfloat16EEv16rocsparse_order_T2_S3_PKT3_lPT1_
    .private_segment_fixed_size: 0
    .sgpr_count:     39
    .sgpr_spill_count: 0
    .symbol:         _ZN9rocsparseL14nnz_kernel_rowILi64ELi16Eii18rocsparse_bfloat16EEv16rocsparse_order_T2_S3_PKT3_lPT1_.kd
    .uniform_work_group_size: 1
    .uses_dynamic_stack: false
    .vgpr_count:     30
    .vgpr_spill_count: 0
    .wavefront_size: 64
  - .args:
      - .offset:         0
        .size:           4
        .value_kind:     by_value
      - .offset:         4
        .size:           4
        .value_kind:     by_value
      - .offset:         8
        .size:           4
        .value_kind:     by_value
      - .actual_access:  read_only
        .address_space:  global
        .offset:         16
        .size:           8
        .value_kind:     global_buffer
      - .offset:         24
        .size:           8
        .value_kind:     by_value
      - .actual_access:  write_only
        .address_space:  global
        .offset:         32
        .size:           8
        .value_kind:     global_buffer
    .group_segment_fixed_size: 1024
    .kernarg_segment_align: 8
    .kernarg_segment_size: 40
    .language:       OpenCL C
    .language_version:
      - 2
      - 0
    .max_flat_workgroup_size: 256
    .name:           _ZN9rocsparseL14nnz_kernel_colILi256Eii18rocsparse_bfloat16EEv16rocsparse_order_T1_S3_PKT2_lPT0_
    .private_segment_fixed_size: 0
    .sgpr_count:     20
    .sgpr_spill_count: 0
    .symbol:         _ZN9rocsparseL14nnz_kernel_colILi256Eii18rocsparse_bfloat16EEv16rocsparse_order_T1_S3_PKT2_lPT0_.kd
    .uniform_work_group_size: 1
    .uses_dynamic_stack: false
    .vgpr_count:     11
    .vgpr_spill_count: 0
    .wavefront_size: 64
  - .args:
      - .offset:         0
        .size:           4
        .value_kind:     by_value
      - .offset:         4
        .size:           4
        .value_kind:     by_value
      - .offset:         8
        .size:           4
        .value_kind:     by_value
      - .actual_access:  read_only
        .address_space:  global
        .offset:         16
        .size:           8
        .value_kind:     global_buffer
      - .offset:         24
        .size:           8
        .value_kind:     by_value
      - .actual_access:  write_only
        .address_space:  global
        .offset:         32
        .size:           8
        .value_kind:     global_buffer
      - .offset:         40
        .size:           4
        .value_kind:     hidden_block_count_x
      - .offset:         44
        .size:           4
        .value_kind:     hidden_block_count_y
      - .offset:         48
        .size:           4
        .value_kind:     hidden_block_count_z
      - .offset:         52
        .size:           2
        .value_kind:     hidden_group_size_x
      - .offset:         54
        .size:           2
        .value_kind:     hidden_group_size_y
      - .offset:         56
        .size:           2
        .value_kind:     hidden_group_size_z
      - .offset:         58
        .size:           2
        .value_kind:     hidden_remainder_x
      - .offset:         60
        .size:           2
        .value_kind:     hidden_remainder_y
      - .offset:         62
        .size:           2
        .value_kind:     hidden_remainder_z
      - .offset:         80
        .size:           8
        .value_kind:     hidden_global_offset_x
      - .offset:         88
        .size:           8
        .value_kind:     hidden_global_offset_y
      - .offset:         96
        .size:           8
        .value_kind:     hidden_global_offset_z
      - .offset:         104
        .size:           2
        .value_kind:     hidden_grid_dims
    .group_segment_fixed_size: 16384
    .kernarg_segment_align: 8
    .kernarg_segment_size: 296
    .language:       OpenCL C
    .language_version:
      - 2
      - 0
    .max_flat_workgroup_size: 1024
    .name:           _ZN9rocsparseL14nnz_kernel_rowILi64ELi16EiifEEv16rocsparse_order_T2_S2_PKT3_lPT1_
    .private_segment_fixed_size: 0
    .sgpr_count:     38
    .sgpr_spill_count: 0
    .symbol:         _ZN9rocsparseL14nnz_kernel_rowILi64ELi16EiifEEv16rocsparse_order_T2_S2_PKT3_lPT1_.kd
    .uniform_work_group_size: 1
    .uses_dynamic_stack: false
    .vgpr_count:     32
    .vgpr_spill_count: 0
    .wavefront_size: 64
  - .args:
      - .offset:         0
        .size:           4
        .value_kind:     by_value
      - .offset:         4
        .size:           4
        .value_kind:     by_value
      - .offset:         8
        .size:           4
        .value_kind:     by_value
      - .actual_access:  read_only
        .address_space:  global
        .offset:         16
        .size:           8
        .value_kind:     global_buffer
      - .offset:         24
        .size:           8
        .value_kind:     by_value
      - .actual_access:  write_only
        .address_space:  global
        .offset:         32
        .size:           8
        .value_kind:     global_buffer
    .group_segment_fixed_size: 1024
    .kernarg_segment_align: 8
    .kernarg_segment_size: 40
    .language:       OpenCL C
    .language_version:
      - 2
      - 0
    .max_flat_workgroup_size: 256
    .name:           _ZN9rocsparseL14nnz_kernel_colILi256EiifEEv16rocsparse_order_T1_S2_PKT2_lPT0_
    .private_segment_fixed_size: 0
    .sgpr_count:     20
    .sgpr_spill_count: 0
    .symbol:         _ZN9rocsparseL14nnz_kernel_colILi256EiifEEv16rocsparse_order_T1_S2_PKT2_lPT0_.kd
    .uniform_work_group_size: 1
    .uses_dynamic_stack: false
    .vgpr_count:     11
    .vgpr_spill_count: 0
    .wavefront_size: 64
  - .args:
      - .offset:         0
        .size:           4
        .value_kind:     by_value
      - .offset:         4
        .size:           4
        .value_kind:     by_value
      - .offset:         8
        .size:           4
        .value_kind:     by_value
      - .actual_access:  read_only
        .address_space:  global
        .offset:         16
        .size:           8
        .value_kind:     global_buffer
      - .offset:         24
        .size:           8
        .value_kind:     by_value
      - .actual_access:  write_only
        .address_space:  global
        .offset:         32
        .size:           8
        .value_kind:     global_buffer
      - .offset:         40
        .size:           4
        .value_kind:     hidden_block_count_x
      - .offset:         44
        .size:           4
        .value_kind:     hidden_block_count_y
      - .offset:         48
        .size:           4
        .value_kind:     hidden_block_count_z
      - .offset:         52
        .size:           2
        .value_kind:     hidden_group_size_x
      - .offset:         54
        .size:           2
        .value_kind:     hidden_group_size_y
      - .offset:         56
        .size:           2
        .value_kind:     hidden_group_size_z
      - .offset:         58
        .size:           2
        .value_kind:     hidden_remainder_x
      - .offset:         60
        .size:           2
        .value_kind:     hidden_remainder_y
      - .offset:         62
        .size:           2
        .value_kind:     hidden_remainder_z
      - .offset:         80
        .size:           8
        .value_kind:     hidden_global_offset_x
      - .offset:         88
        .size:           8
        .value_kind:     hidden_global_offset_y
      - .offset:         96
        .size:           8
        .value_kind:     hidden_global_offset_z
      - .offset:         104
        .size:           2
        .value_kind:     hidden_grid_dims
    .group_segment_fixed_size: 16384
    .kernarg_segment_align: 8
    .kernarg_segment_size: 296
    .language:       OpenCL C
    .language_version:
      - 2
      - 0
    .max_flat_workgroup_size: 1024
    .name:           _ZN9rocsparseL14nnz_kernel_rowILi64ELi16EiidEEv16rocsparse_order_T2_S2_PKT3_lPT1_
    .private_segment_fixed_size: 0
    .sgpr_count:     42
    .sgpr_spill_count: 0
    .symbol:         _ZN9rocsparseL14nnz_kernel_rowILi64ELi16EiidEEv16rocsparse_order_T2_S2_PKT3_lPT1_.kd
    .uniform_work_group_size: 1
    .uses_dynamic_stack: false
    .vgpr_count:     34
    .vgpr_spill_count: 0
    .wavefront_size: 64
  - .args:
      - .offset:         0
        .size:           4
        .value_kind:     by_value
      - .offset:         4
        .size:           4
        .value_kind:     by_value
      - .offset:         8
        .size:           4
        .value_kind:     by_value
      - .actual_access:  read_only
        .address_space:  global
        .offset:         16
        .size:           8
        .value_kind:     global_buffer
      - .offset:         24
        .size:           8
        .value_kind:     by_value
      - .actual_access:  write_only
        .address_space:  global
        .offset:         32
        .size:           8
        .value_kind:     global_buffer
    .group_segment_fixed_size: 1024
    .kernarg_segment_align: 8
    .kernarg_segment_size: 40
    .language:       OpenCL C
    .language_version:
      - 2
      - 0
    .max_flat_workgroup_size: 256
    .name:           _ZN9rocsparseL14nnz_kernel_colILi256EiidEEv16rocsparse_order_T1_S2_PKT2_lPT0_
    .private_segment_fixed_size: 0
    .sgpr_count:     20
    .sgpr_spill_count: 0
    .symbol:         _ZN9rocsparseL14nnz_kernel_colILi256EiidEEv16rocsparse_order_T1_S2_PKT2_lPT0_.kd
    .uniform_work_group_size: 1
    .uses_dynamic_stack: false
    .vgpr_count:     11
    .vgpr_spill_count: 0
    .wavefront_size: 64
  - .args:
      - .offset:         0
        .size:           4
        .value_kind:     by_value
      - .offset:         4
        .size:           4
        .value_kind:     by_value
      - .offset:         8
        .size:           4
        .value_kind:     by_value
      - .actual_access:  read_only
        .address_space:  global
        .offset:         16
        .size:           8
        .value_kind:     global_buffer
      - .offset:         24
        .size:           8
        .value_kind:     by_value
      - .actual_access:  write_only
        .address_space:  global
        .offset:         32
        .size:           8
        .value_kind:     global_buffer
      - .offset:         40
        .size:           4
        .value_kind:     hidden_block_count_x
      - .offset:         44
        .size:           4
        .value_kind:     hidden_block_count_y
      - .offset:         48
        .size:           4
        .value_kind:     hidden_block_count_z
      - .offset:         52
        .size:           2
        .value_kind:     hidden_group_size_x
      - .offset:         54
        .size:           2
        .value_kind:     hidden_group_size_y
      - .offset:         56
        .size:           2
        .value_kind:     hidden_group_size_z
      - .offset:         58
        .size:           2
        .value_kind:     hidden_remainder_x
      - .offset:         60
        .size:           2
        .value_kind:     hidden_remainder_y
      - .offset:         62
        .size:           2
        .value_kind:     hidden_remainder_z
      - .offset:         80
        .size:           8
        .value_kind:     hidden_global_offset_x
      - .offset:         88
        .size:           8
        .value_kind:     hidden_global_offset_y
      - .offset:         96
        .size:           8
        .value_kind:     hidden_global_offset_z
      - .offset:         104
        .size:           2
        .value_kind:     hidden_grid_dims
    .group_segment_fixed_size: 16384
    .kernarg_segment_align: 8
    .kernarg_segment_size: 296
    .language:       OpenCL C
    .language_version:
      - 2
      - 0
    .max_flat_workgroup_size: 1024
    .name:           _ZN9rocsparseL14nnz_kernel_rowILi64ELi16Eii21rocsparse_complex_numIfEEEv16rocsparse_order_T2_S4_PKT3_lPT1_
    .private_segment_fixed_size: 0
    .sgpr_count:     50
    .sgpr_spill_count: 0
    .symbol:         _ZN9rocsparseL14nnz_kernel_rowILi64ELi16Eii21rocsparse_complex_numIfEEEv16rocsparse_order_T2_S4_PKT3_lPT1_.kd
    .uniform_work_group_size: 1
    .uses_dynamic_stack: false
    .vgpr_count:     34
    .vgpr_spill_count: 0
    .wavefront_size: 64
  - .args:
      - .offset:         0
        .size:           4
        .value_kind:     by_value
      - .offset:         4
        .size:           4
        .value_kind:     by_value
      - .offset:         8
        .size:           4
        .value_kind:     by_value
      - .actual_access:  read_only
        .address_space:  global
        .offset:         16
        .size:           8
        .value_kind:     global_buffer
      - .offset:         24
        .size:           8
        .value_kind:     by_value
      - .actual_access:  write_only
        .address_space:  global
        .offset:         32
        .size:           8
        .value_kind:     global_buffer
    .group_segment_fixed_size: 1024
    .kernarg_segment_align: 8
    .kernarg_segment_size: 40
    .language:       OpenCL C
    .language_version:
      - 2
      - 0
    .max_flat_workgroup_size: 256
    .name:           _ZN9rocsparseL14nnz_kernel_colILi256Eii21rocsparse_complex_numIfEEEv16rocsparse_order_T1_S4_PKT2_lPT0_
    .private_segment_fixed_size: 0
    .sgpr_count:     24
    .sgpr_spill_count: 0
    .symbol:         _ZN9rocsparseL14nnz_kernel_colILi256Eii21rocsparse_complex_numIfEEEv16rocsparse_order_T1_S4_PKT2_lPT0_.kd
    .uniform_work_group_size: 1
    .uses_dynamic_stack: false
    .vgpr_count:     11
    .vgpr_spill_count: 0
    .wavefront_size: 64
  - .args:
      - .offset:         0
        .size:           4
        .value_kind:     by_value
      - .offset:         4
        .size:           4
        .value_kind:     by_value
      - .offset:         8
        .size:           4
        .value_kind:     by_value
      - .actual_access:  read_only
        .address_space:  global
        .offset:         16
        .size:           8
        .value_kind:     global_buffer
      - .offset:         24
        .size:           8
        .value_kind:     by_value
      - .actual_access:  write_only
        .address_space:  global
        .offset:         32
        .size:           8
        .value_kind:     global_buffer
      - .offset:         40
        .size:           4
        .value_kind:     hidden_block_count_x
      - .offset:         44
        .size:           4
        .value_kind:     hidden_block_count_y
      - .offset:         48
        .size:           4
        .value_kind:     hidden_block_count_z
      - .offset:         52
        .size:           2
        .value_kind:     hidden_group_size_x
      - .offset:         54
        .size:           2
        .value_kind:     hidden_group_size_y
      - .offset:         56
        .size:           2
        .value_kind:     hidden_group_size_z
      - .offset:         58
        .size:           2
        .value_kind:     hidden_remainder_x
      - .offset:         60
        .size:           2
        .value_kind:     hidden_remainder_y
      - .offset:         62
        .size:           2
        .value_kind:     hidden_remainder_z
      - .offset:         80
        .size:           8
        .value_kind:     hidden_global_offset_x
      - .offset:         88
        .size:           8
        .value_kind:     hidden_global_offset_y
      - .offset:         96
        .size:           8
        .value_kind:     hidden_global_offset_z
      - .offset:         104
        .size:           2
        .value_kind:     hidden_grid_dims
    .group_segment_fixed_size: 16384
    .kernarg_segment_align: 8
    .kernarg_segment_size: 296
    .language:       OpenCL C
    .language_version:
      - 2
      - 0
    .max_flat_workgroup_size: 1024
    .name:           _ZN9rocsparseL14nnz_kernel_rowILi64ELi16Eii21rocsparse_complex_numIdEEEv16rocsparse_order_T2_S4_PKT3_lPT1_
    .private_segment_fixed_size: 0
    .sgpr_count:     50
    .sgpr_spill_count: 0
    .symbol:         _ZN9rocsparseL14nnz_kernel_rowILi64ELi16Eii21rocsparse_complex_numIdEEEv16rocsparse_order_T2_S4_PKT3_lPT1_.kd
    .uniform_work_group_size: 1
    .uses_dynamic_stack: false
    .vgpr_count:     46
    .vgpr_spill_count: 0
    .wavefront_size: 64
  - .args:
      - .offset:         0
        .size:           4
        .value_kind:     by_value
      - .offset:         4
        .size:           4
        .value_kind:     by_value
      - .offset:         8
        .size:           4
        .value_kind:     by_value
      - .actual_access:  read_only
        .address_space:  global
        .offset:         16
        .size:           8
        .value_kind:     global_buffer
      - .offset:         24
        .size:           8
        .value_kind:     by_value
      - .actual_access:  write_only
        .address_space:  global
        .offset:         32
        .size:           8
        .value_kind:     global_buffer
    .group_segment_fixed_size: 1024
    .kernarg_segment_align: 8
    .kernarg_segment_size: 40
    .language:       OpenCL C
    .language_version:
      - 2
      - 0
    .max_flat_workgroup_size: 256
    .name:           _ZN9rocsparseL14nnz_kernel_colILi256Eii21rocsparse_complex_numIdEEEv16rocsparse_order_T1_S4_PKT2_lPT0_
    .private_segment_fixed_size: 0
    .sgpr_count:     24
    .sgpr_spill_count: 0
    .symbol:         _ZN9rocsparseL14nnz_kernel_colILi256Eii21rocsparse_complex_numIdEEEv16rocsparse_order_T1_S4_PKT2_lPT0_.kd
    .uniform_work_group_size: 1
    .uses_dynamic_stack: false
    .vgpr_count:     11
    .vgpr_spill_count: 0
    .wavefront_size: 64
  - .args:
      - .offset:         0
        .size:           4
        .value_kind:     by_value
      - .offset:         4
        .size:           4
        .value_kind:     by_value
      - .offset:         8
        .size:           4
        .value_kind:     by_value
      - .actual_access:  read_only
        .address_space:  global
        .offset:         16
        .size:           8
        .value_kind:     global_buffer
      - .offset:         24
        .size:           8
        .value_kind:     by_value
      - .actual_access:  write_only
        .address_space:  global
        .offset:         32
        .size:           8
        .value_kind:     global_buffer
      - .offset:         40
        .size:           4
        .value_kind:     hidden_block_count_x
      - .offset:         44
        .size:           4
        .value_kind:     hidden_block_count_y
      - .offset:         48
        .size:           4
        .value_kind:     hidden_block_count_z
      - .offset:         52
        .size:           2
        .value_kind:     hidden_group_size_x
      - .offset:         54
        .size:           2
        .value_kind:     hidden_group_size_y
      - .offset:         56
        .size:           2
        .value_kind:     hidden_group_size_z
      - .offset:         58
        .size:           2
        .value_kind:     hidden_remainder_x
      - .offset:         60
        .size:           2
        .value_kind:     hidden_remainder_y
      - .offset:         62
        .size:           2
        .value_kind:     hidden_remainder_z
      - .offset:         80
        .size:           8
        .value_kind:     hidden_global_offset_x
      - .offset:         88
        .size:           8
        .value_kind:     hidden_global_offset_y
      - .offset:         96
        .size:           8
        .value_kind:     hidden_global_offset_z
      - .offset:         104
        .size:           2
        .value_kind:     hidden_grid_dims
    .group_segment_fixed_size: 32768
    .kernarg_segment_align: 8
    .kernarg_segment_size: 296
    .language:       OpenCL C
    .language_version:
      - 2
      - 0
    .max_flat_workgroup_size: 1024
    .name:           _ZN9rocsparseL14nnz_kernel_rowILi64ELi16Eli18rocsparse_bfloat16EEv16rocsparse_order_T2_S3_PKT3_lPT1_
    .private_segment_fixed_size: 0
    .sgpr_count:     39
    .sgpr_spill_count: 0
    .symbol:         _ZN9rocsparseL14nnz_kernel_rowILi64ELi16Eli18rocsparse_bfloat16EEv16rocsparse_order_T2_S3_PKT3_lPT1_.kd
    .uniform_work_group_size: 1
    .uses_dynamic_stack: false
    .vgpr_count:     37
    .vgpr_spill_count: 0
    .wavefront_size: 64
  - .args:
      - .offset:         0
        .size:           4
        .value_kind:     by_value
      - .offset:         4
        .size:           4
        .value_kind:     by_value
      - .offset:         8
        .size:           4
        .value_kind:     by_value
      - .actual_access:  read_only
        .address_space:  global
        .offset:         16
        .size:           8
        .value_kind:     global_buffer
      - .offset:         24
        .size:           8
        .value_kind:     by_value
      - .actual_access:  write_only
        .address_space:  global
        .offset:         32
        .size:           8
        .value_kind:     global_buffer
    .group_segment_fixed_size: 2048
    .kernarg_segment_align: 8
    .kernarg_segment_size: 40
    .language:       OpenCL C
    .language_version:
      - 2
      - 0
    .max_flat_workgroup_size: 256
    .name:           _ZN9rocsparseL14nnz_kernel_colILi256Eli18rocsparse_bfloat16EEv16rocsparse_order_T1_S3_PKT2_lPT0_
    .private_segment_fixed_size: 0
    .sgpr_count:     20
    .sgpr_spill_count: 0
    .symbol:         _ZN9rocsparseL14nnz_kernel_colILi256Eli18rocsparse_bfloat16EEv16rocsparse_order_T1_S3_PKT2_lPT0_.kd
    .uniform_work_group_size: 1
    .uses_dynamic_stack: false
    .vgpr_count:     20
    .vgpr_spill_count: 0
    .wavefront_size: 64
  - .args:
      - .offset:         0
        .size:           4
        .value_kind:     by_value
      - .offset:         4
        .size:           4
        .value_kind:     by_value
      - .offset:         8
        .size:           4
        .value_kind:     by_value
      - .actual_access:  read_only
        .address_space:  global
        .offset:         16
        .size:           8
        .value_kind:     global_buffer
      - .offset:         24
        .size:           8
        .value_kind:     by_value
      - .actual_access:  write_only
        .address_space:  global
        .offset:         32
        .size:           8
        .value_kind:     global_buffer
      - .offset:         40
        .size:           4
        .value_kind:     hidden_block_count_x
      - .offset:         44
        .size:           4
        .value_kind:     hidden_block_count_y
      - .offset:         48
        .size:           4
        .value_kind:     hidden_block_count_z
      - .offset:         52
        .size:           2
        .value_kind:     hidden_group_size_x
      - .offset:         54
        .size:           2
        .value_kind:     hidden_group_size_y
      - .offset:         56
        .size:           2
        .value_kind:     hidden_group_size_z
      - .offset:         58
        .size:           2
        .value_kind:     hidden_remainder_x
      - .offset:         60
        .size:           2
        .value_kind:     hidden_remainder_y
      - .offset:         62
        .size:           2
        .value_kind:     hidden_remainder_z
      - .offset:         80
        .size:           8
        .value_kind:     hidden_global_offset_x
      - .offset:         88
        .size:           8
        .value_kind:     hidden_global_offset_y
      - .offset:         96
        .size:           8
        .value_kind:     hidden_global_offset_z
      - .offset:         104
        .size:           2
        .value_kind:     hidden_grid_dims
    .group_segment_fixed_size: 32768
    .kernarg_segment_align: 8
    .kernarg_segment_size: 296
    .language:       OpenCL C
    .language_version:
      - 2
      - 0
    .max_flat_workgroup_size: 1024
    .name:           _ZN9rocsparseL14nnz_kernel_rowILi64ELi16EliDF16_EEv16rocsparse_order_T2_S2_PKT3_lPT1_
    .private_segment_fixed_size: 0
    .sgpr_count:     38
    .sgpr_spill_count: 0
    .symbol:         _ZN9rocsparseL14nnz_kernel_rowILi64ELi16EliDF16_EEv16rocsparse_order_T2_S2_PKT3_lPT1_.kd
    .uniform_work_group_size: 1
    .uses_dynamic_stack: false
    .vgpr_count:     38
    .vgpr_spill_count: 0
    .wavefront_size: 64
  - .args:
      - .offset:         0
        .size:           4
        .value_kind:     by_value
      - .offset:         4
        .size:           4
        .value_kind:     by_value
      - .offset:         8
        .size:           4
        .value_kind:     by_value
      - .actual_access:  read_only
        .address_space:  global
        .offset:         16
        .size:           8
        .value_kind:     global_buffer
      - .offset:         24
        .size:           8
        .value_kind:     by_value
      - .actual_access:  write_only
        .address_space:  global
        .offset:         32
        .size:           8
        .value_kind:     global_buffer
    .group_segment_fixed_size: 2048
    .kernarg_segment_align: 8
    .kernarg_segment_size: 40
    .language:       OpenCL C
    .language_version:
      - 2
      - 0
    .max_flat_workgroup_size: 256
    .name:           _ZN9rocsparseL14nnz_kernel_colILi256EliDF16_EEv16rocsparse_order_T1_S2_PKT2_lPT0_
    .private_segment_fixed_size: 0
    .sgpr_count:     20
    .sgpr_spill_count: 0
    .symbol:         _ZN9rocsparseL14nnz_kernel_colILi256EliDF16_EEv16rocsparse_order_T1_S2_PKT2_lPT0_.kd
    .uniform_work_group_size: 1
    .uses_dynamic_stack: false
    .vgpr_count:     20
    .vgpr_spill_count: 0
    .wavefront_size: 64
  - .args:
      - .offset:         0
        .size:           4
        .value_kind:     by_value
      - .offset:         4
        .size:           4
        .value_kind:     by_value
      - .offset:         8
        .size:           4
        .value_kind:     by_value
      - .actual_access:  read_only
        .address_space:  global
        .offset:         16
        .size:           8
        .value_kind:     global_buffer
      - .offset:         24
        .size:           8
        .value_kind:     by_value
      - .actual_access:  write_only
        .address_space:  global
        .offset:         32
        .size:           8
        .value_kind:     global_buffer
      - .offset:         40
        .size:           4
        .value_kind:     hidden_block_count_x
      - .offset:         44
        .size:           4
        .value_kind:     hidden_block_count_y
      - .offset:         48
        .size:           4
        .value_kind:     hidden_block_count_z
      - .offset:         52
        .size:           2
        .value_kind:     hidden_group_size_x
      - .offset:         54
        .size:           2
        .value_kind:     hidden_group_size_y
      - .offset:         56
        .size:           2
        .value_kind:     hidden_group_size_z
      - .offset:         58
        .size:           2
        .value_kind:     hidden_remainder_x
      - .offset:         60
        .size:           2
        .value_kind:     hidden_remainder_y
      - .offset:         62
        .size:           2
        .value_kind:     hidden_remainder_z
      - .offset:         80
        .size:           8
        .value_kind:     hidden_global_offset_x
      - .offset:         88
        .size:           8
        .value_kind:     hidden_global_offset_y
      - .offset:         96
        .size:           8
        .value_kind:     hidden_global_offset_z
      - .offset:         104
        .size:           2
        .value_kind:     hidden_grid_dims
    .group_segment_fixed_size: 32768
    .kernarg_segment_align: 8
    .kernarg_segment_size: 296
    .language:       OpenCL C
    .language_version:
      - 2
      - 0
    .max_flat_workgroup_size: 1024
    .name:           _ZN9rocsparseL14nnz_kernel_rowILi64ELi16ElifEEv16rocsparse_order_T2_S2_PKT3_lPT1_
    .private_segment_fixed_size: 0
    .sgpr_count:     38
    .sgpr_spill_count: 0
    .symbol:         _ZN9rocsparseL14nnz_kernel_rowILi64ELi16ElifEEv16rocsparse_order_T2_S2_PKT3_lPT1_.kd
    .uniform_work_group_size: 1
    .uses_dynamic_stack: false
    .vgpr_count:     37
    .vgpr_spill_count: 0
    .wavefront_size: 64
  - .args:
      - .offset:         0
        .size:           4
        .value_kind:     by_value
      - .offset:         4
        .size:           4
        .value_kind:     by_value
      - .offset:         8
        .size:           4
        .value_kind:     by_value
      - .actual_access:  read_only
        .address_space:  global
        .offset:         16
        .size:           8
        .value_kind:     global_buffer
      - .offset:         24
        .size:           8
        .value_kind:     by_value
      - .actual_access:  write_only
        .address_space:  global
        .offset:         32
        .size:           8
        .value_kind:     global_buffer
    .group_segment_fixed_size: 2048
    .kernarg_segment_align: 8
    .kernarg_segment_size: 40
    .language:       OpenCL C
    .language_version:
      - 2
      - 0
    .max_flat_workgroup_size: 256
    .name:           _ZN9rocsparseL14nnz_kernel_colILi256ElifEEv16rocsparse_order_T1_S2_PKT2_lPT0_
    .private_segment_fixed_size: 0
    .sgpr_count:     20
    .sgpr_spill_count: 0
    .symbol:         _ZN9rocsparseL14nnz_kernel_colILi256ElifEEv16rocsparse_order_T1_S2_PKT2_lPT0_.kd
    .uniform_work_group_size: 1
    .uses_dynamic_stack: false
    .vgpr_count:     20
    .vgpr_spill_count: 0
    .wavefront_size: 64
  - .args:
      - .offset:         0
        .size:           4
        .value_kind:     by_value
      - .offset:         4
        .size:           4
        .value_kind:     by_value
      - .offset:         8
        .size:           4
        .value_kind:     by_value
      - .actual_access:  read_only
        .address_space:  global
        .offset:         16
        .size:           8
        .value_kind:     global_buffer
      - .offset:         24
        .size:           8
        .value_kind:     by_value
      - .actual_access:  write_only
        .address_space:  global
        .offset:         32
        .size:           8
        .value_kind:     global_buffer
      - .offset:         40
        .size:           4
        .value_kind:     hidden_block_count_x
      - .offset:         44
        .size:           4
        .value_kind:     hidden_block_count_y
      - .offset:         48
        .size:           4
        .value_kind:     hidden_block_count_z
      - .offset:         52
        .size:           2
        .value_kind:     hidden_group_size_x
      - .offset:         54
        .size:           2
        .value_kind:     hidden_group_size_y
      - .offset:         56
        .size:           2
        .value_kind:     hidden_group_size_z
      - .offset:         58
        .size:           2
        .value_kind:     hidden_remainder_x
      - .offset:         60
        .size:           2
        .value_kind:     hidden_remainder_y
      - .offset:         62
        .size:           2
        .value_kind:     hidden_remainder_z
      - .offset:         80
        .size:           8
        .value_kind:     hidden_global_offset_x
      - .offset:         88
        .size:           8
        .value_kind:     hidden_global_offset_y
      - .offset:         96
        .size:           8
        .value_kind:     hidden_global_offset_z
      - .offset:         104
        .size:           2
        .value_kind:     hidden_grid_dims
    .group_segment_fixed_size: 32768
    .kernarg_segment_align: 8
    .kernarg_segment_size: 296
    .language:       OpenCL C
    .language_version:
      - 2
      - 0
    .max_flat_workgroup_size: 1024
    .name:           _ZN9rocsparseL14nnz_kernel_rowILi64ELi16ElidEEv16rocsparse_order_T2_S2_PKT3_lPT1_
    .private_segment_fixed_size: 0
    .sgpr_count:     38
    .sgpr_spill_count: 0
    .symbol:         _ZN9rocsparseL14nnz_kernel_rowILi64ELi16ElidEEv16rocsparse_order_T2_S2_PKT3_lPT1_.kd
    .uniform_work_group_size: 1
    .uses_dynamic_stack: false
    .vgpr_count:     41
    .vgpr_spill_count: 0
    .wavefront_size: 64
  - .args:
      - .offset:         0
        .size:           4
        .value_kind:     by_value
      - .offset:         4
        .size:           4
        .value_kind:     by_value
      - .offset:         8
        .size:           4
        .value_kind:     by_value
      - .actual_access:  read_only
        .address_space:  global
        .offset:         16
        .size:           8
        .value_kind:     global_buffer
      - .offset:         24
        .size:           8
        .value_kind:     by_value
      - .actual_access:  write_only
        .address_space:  global
        .offset:         32
        .size:           8
        .value_kind:     global_buffer
    .group_segment_fixed_size: 2048
    .kernarg_segment_align: 8
    .kernarg_segment_size: 40
    .language:       OpenCL C
    .language_version:
      - 2
      - 0
    .max_flat_workgroup_size: 256
    .name:           _ZN9rocsparseL14nnz_kernel_colILi256ElidEEv16rocsparse_order_T1_S2_PKT2_lPT0_
    .private_segment_fixed_size: 0
    .sgpr_count:     20
    .sgpr_spill_count: 0
    .symbol:         _ZN9rocsparseL14nnz_kernel_colILi256ElidEEv16rocsparse_order_T1_S2_PKT2_lPT0_.kd
    .uniform_work_group_size: 1
    .uses_dynamic_stack: false
    .vgpr_count:     20
    .vgpr_spill_count: 0
    .wavefront_size: 64
  - .args:
      - .offset:         0
        .size:           4
        .value_kind:     by_value
      - .offset:         4
        .size:           4
        .value_kind:     by_value
      - .offset:         8
        .size:           4
        .value_kind:     by_value
      - .actual_access:  read_only
        .address_space:  global
        .offset:         16
        .size:           8
        .value_kind:     global_buffer
      - .offset:         24
        .size:           8
        .value_kind:     by_value
      - .actual_access:  write_only
        .address_space:  global
        .offset:         32
        .size:           8
        .value_kind:     global_buffer
      - .offset:         40
        .size:           4
        .value_kind:     hidden_block_count_x
      - .offset:         44
        .size:           4
        .value_kind:     hidden_block_count_y
      - .offset:         48
        .size:           4
        .value_kind:     hidden_block_count_z
      - .offset:         52
        .size:           2
        .value_kind:     hidden_group_size_x
      - .offset:         54
        .size:           2
        .value_kind:     hidden_group_size_y
      - .offset:         56
        .size:           2
        .value_kind:     hidden_group_size_z
      - .offset:         58
        .size:           2
        .value_kind:     hidden_remainder_x
      - .offset:         60
        .size:           2
        .value_kind:     hidden_remainder_y
      - .offset:         62
        .size:           2
        .value_kind:     hidden_remainder_z
      - .offset:         80
        .size:           8
        .value_kind:     hidden_global_offset_x
      - .offset:         88
        .size:           8
        .value_kind:     hidden_global_offset_y
      - .offset:         96
        .size:           8
        .value_kind:     hidden_global_offset_z
      - .offset:         104
        .size:           2
        .value_kind:     hidden_grid_dims
    .group_segment_fixed_size: 32768
    .kernarg_segment_align: 8
    .kernarg_segment_size: 296
    .language:       OpenCL C
    .language_version:
      - 2
      - 0
    .max_flat_workgroup_size: 1024
    .name:           _ZN9rocsparseL14nnz_kernel_rowILi64ELi16Eli21rocsparse_complex_numIfEEEv16rocsparse_order_T2_S4_PKT3_lPT1_
    .private_segment_fixed_size: 0
    .sgpr_count:     50
    .sgpr_spill_count: 0
    .symbol:         _ZN9rocsparseL14nnz_kernel_rowILi64ELi16Eli21rocsparse_complex_numIfEEEv16rocsparse_order_T2_S4_PKT3_lPT1_.kd
    .uniform_work_group_size: 1
    .uses_dynamic_stack: false
    .vgpr_count:     39
    .vgpr_spill_count: 0
    .wavefront_size: 64
  - .args:
      - .offset:         0
        .size:           4
        .value_kind:     by_value
      - .offset:         4
        .size:           4
        .value_kind:     by_value
      - .offset:         8
        .size:           4
        .value_kind:     by_value
      - .actual_access:  read_only
        .address_space:  global
        .offset:         16
        .size:           8
        .value_kind:     global_buffer
      - .offset:         24
        .size:           8
        .value_kind:     by_value
      - .actual_access:  write_only
        .address_space:  global
        .offset:         32
        .size:           8
        .value_kind:     global_buffer
    .group_segment_fixed_size: 2048
    .kernarg_segment_align: 8
    .kernarg_segment_size: 40
    .language:       OpenCL C
    .language_version:
      - 2
      - 0
    .max_flat_workgroup_size: 256
    .name:           _ZN9rocsparseL14nnz_kernel_colILi256Eli21rocsparse_complex_numIfEEEv16rocsparse_order_T1_S4_PKT2_lPT0_
    .private_segment_fixed_size: 0
    .sgpr_count:     24
    .sgpr_spill_count: 0
    .symbol:         _ZN9rocsparseL14nnz_kernel_colILi256Eli21rocsparse_complex_numIfEEEv16rocsparse_order_T1_S4_PKT2_lPT0_.kd
    .uniform_work_group_size: 1
    .uses_dynamic_stack: false
    .vgpr_count:     20
    .vgpr_spill_count: 0
    .wavefront_size: 64
  - .args:
      - .offset:         0
        .size:           4
        .value_kind:     by_value
      - .offset:         4
        .size:           4
        .value_kind:     by_value
      - .offset:         8
        .size:           4
        .value_kind:     by_value
      - .actual_access:  read_only
        .address_space:  global
        .offset:         16
        .size:           8
        .value_kind:     global_buffer
      - .offset:         24
        .size:           8
        .value_kind:     by_value
      - .actual_access:  write_only
        .address_space:  global
        .offset:         32
        .size:           8
        .value_kind:     global_buffer
      - .offset:         40
        .size:           4
        .value_kind:     hidden_block_count_x
      - .offset:         44
        .size:           4
        .value_kind:     hidden_block_count_y
      - .offset:         48
        .size:           4
        .value_kind:     hidden_block_count_z
      - .offset:         52
        .size:           2
        .value_kind:     hidden_group_size_x
      - .offset:         54
        .size:           2
        .value_kind:     hidden_group_size_y
      - .offset:         56
        .size:           2
        .value_kind:     hidden_group_size_z
      - .offset:         58
        .size:           2
        .value_kind:     hidden_remainder_x
      - .offset:         60
        .size:           2
        .value_kind:     hidden_remainder_y
      - .offset:         62
        .size:           2
        .value_kind:     hidden_remainder_z
      - .offset:         80
        .size:           8
        .value_kind:     hidden_global_offset_x
      - .offset:         88
        .size:           8
        .value_kind:     hidden_global_offset_y
      - .offset:         96
        .size:           8
        .value_kind:     hidden_global_offset_z
      - .offset:         104
        .size:           2
        .value_kind:     hidden_grid_dims
    .group_segment_fixed_size: 32768
    .kernarg_segment_align: 8
    .kernarg_segment_size: 296
    .language:       OpenCL C
    .language_version:
      - 2
      - 0
    .max_flat_workgroup_size: 1024
    .name:           _ZN9rocsparseL14nnz_kernel_rowILi64ELi16Eli21rocsparse_complex_numIdEEEv16rocsparse_order_T2_S4_PKT3_lPT1_
    .private_segment_fixed_size: 0
    .sgpr_count:     52
    .sgpr_spill_count: 0
    .symbol:         _ZN9rocsparseL14nnz_kernel_rowILi64ELi16Eli21rocsparse_complex_numIdEEEv16rocsparse_order_T2_S4_PKT3_lPT1_.kd
    .uniform_work_group_size: 1
    .uses_dynamic_stack: false
    .vgpr_count:     46
    .vgpr_spill_count: 0
    .wavefront_size: 64
  - .args:
      - .offset:         0
        .size:           4
        .value_kind:     by_value
      - .offset:         4
        .size:           4
        .value_kind:     by_value
      - .offset:         8
        .size:           4
        .value_kind:     by_value
      - .actual_access:  read_only
        .address_space:  global
        .offset:         16
        .size:           8
        .value_kind:     global_buffer
      - .offset:         24
        .size:           8
        .value_kind:     by_value
      - .actual_access:  write_only
        .address_space:  global
        .offset:         32
        .size:           8
        .value_kind:     global_buffer
    .group_segment_fixed_size: 2048
    .kernarg_segment_align: 8
    .kernarg_segment_size: 40
    .language:       OpenCL C
    .language_version:
      - 2
      - 0
    .max_flat_workgroup_size: 256
    .name:           _ZN9rocsparseL14nnz_kernel_colILi256Eli21rocsparse_complex_numIdEEEv16rocsparse_order_T1_S4_PKT2_lPT0_
    .private_segment_fixed_size: 0
    .sgpr_count:     24
    .sgpr_spill_count: 0
    .symbol:         _ZN9rocsparseL14nnz_kernel_colILi256Eli21rocsparse_complex_numIdEEEv16rocsparse_order_T1_S4_PKT2_lPT0_.kd
    .uniform_work_group_size: 1
    .uses_dynamic_stack: false
    .vgpr_count:     20
    .vgpr_spill_count: 0
    .wavefront_size: 64
  - .args:
      - .offset:         0
        .size:           4
        .value_kind:     by_value
      - .offset:         8
        .size:           8
        .value_kind:     by_value
      - .offset:         16
        .size:           8
        .value_kind:     by_value
      - .actual_access:  read_only
        .address_space:  global
        .offset:         24
        .size:           8
        .value_kind:     global_buffer
      - .offset:         32
        .size:           8
        .value_kind:     by_value
      - .actual_access:  write_only
        .address_space:  global
        .offset:         40
        .size:           8
        .value_kind:     global_buffer
      - .offset:         48
        .size:           4
        .value_kind:     hidden_block_count_x
      - .offset:         52
        .size:           4
        .value_kind:     hidden_block_count_y
      - .offset:         56
        .size:           4
        .value_kind:     hidden_block_count_z
      - .offset:         60
        .size:           2
        .value_kind:     hidden_group_size_x
      - .offset:         62
        .size:           2
        .value_kind:     hidden_group_size_y
      - .offset:         64
        .size:           2
        .value_kind:     hidden_group_size_z
      - .offset:         66
        .size:           2
        .value_kind:     hidden_remainder_x
      - .offset:         68
        .size:           2
        .value_kind:     hidden_remainder_y
      - .offset:         70
        .size:           2
        .value_kind:     hidden_remainder_z
      - .offset:         88
        .size:           8
        .value_kind:     hidden_global_offset_x
      - .offset:         96
        .size:           8
        .value_kind:     hidden_global_offset_y
      - .offset:         104
        .size:           8
        .value_kind:     hidden_global_offset_z
      - .offset:         112
        .size:           2
        .value_kind:     hidden_grid_dims
    .group_segment_fixed_size: 32768
    .kernarg_segment_align: 8
    .kernarg_segment_size: 304
    .language:       OpenCL C
    .language_version:
      - 2
      - 0
    .max_flat_workgroup_size: 1024
    .name:           _ZN9rocsparseL14nnz_kernel_rowILi64ELi16Ell18rocsparse_bfloat16EEv16rocsparse_order_T2_S3_PKT3_lPT1_
    .private_segment_fixed_size: 0
    .sgpr_count:     44
    .sgpr_spill_count: 0
    .symbol:         _ZN9rocsparseL14nnz_kernel_rowILi64ELi16Ell18rocsparse_bfloat16EEv16rocsparse_order_T2_S3_PKT3_lPT1_.kd
    .uniform_work_group_size: 1
    .uses_dynamic_stack: false
    .vgpr_count:     39
    .vgpr_spill_count: 0
    .wavefront_size: 64
  - .args:
      - .offset:         0
        .size:           4
        .value_kind:     by_value
      - .offset:         8
        .size:           8
        .value_kind:     by_value
      - .offset:         16
        .size:           8
        .value_kind:     by_value
      - .actual_access:  read_only
        .address_space:  global
        .offset:         24
        .size:           8
        .value_kind:     global_buffer
      - .offset:         32
        .size:           8
        .value_kind:     by_value
      - .actual_access:  write_only
        .address_space:  global
        .offset:         40
        .size:           8
        .value_kind:     global_buffer
    .group_segment_fixed_size: 2048
    .kernarg_segment_align: 8
    .kernarg_segment_size: 48
    .language:       OpenCL C
    .language_version:
      - 2
      - 0
    .max_flat_workgroup_size: 256
    .name:           _ZN9rocsparseL14nnz_kernel_colILi256Ell18rocsparse_bfloat16EEv16rocsparse_order_T1_S3_PKT2_lPT0_
    .private_segment_fixed_size: 0
    .sgpr_count:     22
    .sgpr_spill_count: 0
    .symbol:         _ZN9rocsparseL14nnz_kernel_colILi256Ell18rocsparse_bfloat16EEv16rocsparse_order_T1_S3_PKT2_lPT0_.kd
    .uniform_work_group_size: 1
    .uses_dynamic_stack: false
    .vgpr_count:     21
    .vgpr_spill_count: 0
    .wavefront_size: 64
  - .args:
      - .offset:         0
        .size:           4
        .value_kind:     by_value
      - .offset:         8
        .size:           8
        .value_kind:     by_value
      - .offset:         16
        .size:           8
        .value_kind:     by_value
      - .actual_access:  read_only
        .address_space:  global
        .offset:         24
        .size:           8
        .value_kind:     global_buffer
      - .offset:         32
        .size:           8
        .value_kind:     by_value
      - .actual_access:  write_only
        .address_space:  global
        .offset:         40
        .size:           8
        .value_kind:     global_buffer
      - .offset:         48
        .size:           4
        .value_kind:     hidden_block_count_x
      - .offset:         52
        .size:           4
        .value_kind:     hidden_block_count_y
      - .offset:         56
        .size:           4
        .value_kind:     hidden_block_count_z
      - .offset:         60
        .size:           2
        .value_kind:     hidden_group_size_x
      - .offset:         62
        .size:           2
        .value_kind:     hidden_group_size_y
      - .offset:         64
        .size:           2
        .value_kind:     hidden_group_size_z
      - .offset:         66
        .size:           2
        .value_kind:     hidden_remainder_x
      - .offset:         68
        .size:           2
        .value_kind:     hidden_remainder_y
      - .offset:         70
        .size:           2
        .value_kind:     hidden_remainder_z
      - .offset:         88
        .size:           8
        .value_kind:     hidden_global_offset_x
      - .offset:         96
        .size:           8
        .value_kind:     hidden_global_offset_y
      - .offset:         104
        .size:           8
        .value_kind:     hidden_global_offset_z
      - .offset:         112
        .size:           2
        .value_kind:     hidden_grid_dims
    .group_segment_fixed_size: 32768
    .kernarg_segment_align: 8
    .kernarg_segment_size: 304
    .language:       OpenCL C
    .language_version:
      - 2
      - 0
    .max_flat_workgroup_size: 1024
    .name:           _ZN9rocsparseL14nnz_kernel_rowILi64ELi16EllDF16_EEv16rocsparse_order_T2_S2_PKT3_lPT1_
    .private_segment_fixed_size: 0
    .sgpr_count:     43
    .sgpr_spill_count: 0
    .symbol:         _ZN9rocsparseL14nnz_kernel_rowILi64ELi16EllDF16_EEv16rocsparse_order_T2_S2_PKT3_lPT1_.kd
    .uniform_work_group_size: 1
    .uses_dynamic_stack: false
    .vgpr_count:     39
    .vgpr_spill_count: 0
    .wavefront_size: 64
  - .args:
      - .offset:         0
        .size:           4
        .value_kind:     by_value
      - .offset:         8
        .size:           8
        .value_kind:     by_value
      - .offset:         16
        .size:           8
        .value_kind:     by_value
      - .actual_access:  read_only
        .address_space:  global
        .offset:         24
        .size:           8
        .value_kind:     global_buffer
      - .offset:         32
        .size:           8
        .value_kind:     by_value
      - .actual_access:  write_only
        .address_space:  global
        .offset:         40
        .size:           8
        .value_kind:     global_buffer
    .group_segment_fixed_size: 2048
    .kernarg_segment_align: 8
    .kernarg_segment_size: 48
    .language:       OpenCL C
    .language_version:
      - 2
      - 0
    .max_flat_workgroup_size: 256
    .name:           _ZN9rocsparseL14nnz_kernel_colILi256EllDF16_EEv16rocsparse_order_T1_S2_PKT2_lPT0_
    .private_segment_fixed_size: 0
    .sgpr_count:     22
    .sgpr_spill_count: 0
    .symbol:         _ZN9rocsparseL14nnz_kernel_colILi256EllDF16_EEv16rocsparse_order_T1_S2_PKT2_lPT0_.kd
    .uniform_work_group_size: 1
    .uses_dynamic_stack: false
    .vgpr_count:     21
    .vgpr_spill_count: 0
    .wavefront_size: 64
  - .args:
      - .offset:         0
        .size:           4
        .value_kind:     by_value
      - .offset:         8
        .size:           8
        .value_kind:     by_value
      - .offset:         16
        .size:           8
        .value_kind:     by_value
      - .actual_access:  read_only
        .address_space:  global
        .offset:         24
        .size:           8
        .value_kind:     global_buffer
      - .offset:         32
        .size:           8
        .value_kind:     by_value
      - .actual_access:  write_only
        .address_space:  global
        .offset:         40
        .size:           8
        .value_kind:     global_buffer
      - .offset:         48
        .size:           4
        .value_kind:     hidden_block_count_x
      - .offset:         52
        .size:           4
        .value_kind:     hidden_block_count_y
      - .offset:         56
        .size:           4
        .value_kind:     hidden_block_count_z
      - .offset:         60
        .size:           2
        .value_kind:     hidden_group_size_x
      - .offset:         62
        .size:           2
        .value_kind:     hidden_group_size_y
      - .offset:         64
        .size:           2
        .value_kind:     hidden_group_size_z
      - .offset:         66
        .size:           2
        .value_kind:     hidden_remainder_x
      - .offset:         68
        .size:           2
        .value_kind:     hidden_remainder_y
      - .offset:         70
        .size:           2
        .value_kind:     hidden_remainder_z
      - .offset:         88
        .size:           8
        .value_kind:     hidden_global_offset_x
      - .offset:         96
        .size:           8
        .value_kind:     hidden_global_offset_y
      - .offset:         104
        .size:           8
        .value_kind:     hidden_global_offset_z
      - .offset:         112
        .size:           2
        .value_kind:     hidden_grid_dims
    .group_segment_fixed_size: 32768
    .kernarg_segment_align: 8
    .kernarg_segment_size: 304
    .language:       OpenCL C
    .language_version:
      - 2
      - 0
    .max_flat_workgroup_size: 1024
    .name:           _ZN9rocsparseL14nnz_kernel_rowILi64ELi16EllfEEv16rocsparse_order_T2_S2_PKT3_lPT1_
    .private_segment_fixed_size: 0
    .sgpr_count:     43
    .sgpr_spill_count: 0
    .symbol:         _ZN9rocsparseL14nnz_kernel_rowILi64ELi16EllfEEv16rocsparse_order_T2_S2_PKT3_lPT1_.kd
    .uniform_work_group_size: 1
    .uses_dynamic_stack: false
    .vgpr_count:     39
    .vgpr_spill_count: 0
    .wavefront_size: 64
  - .args:
      - .offset:         0
        .size:           4
        .value_kind:     by_value
      - .offset:         8
        .size:           8
        .value_kind:     by_value
      - .offset:         16
        .size:           8
        .value_kind:     by_value
      - .actual_access:  read_only
        .address_space:  global
        .offset:         24
        .size:           8
        .value_kind:     global_buffer
      - .offset:         32
        .size:           8
        .value_kind:     by_value
      - .actual_access:  write_only
        .address_space:  global
        .offset:         40
        .size:           8
        .value_kind:     global_buffer
    .group_segment_fixed_size: 2048
    .kernarg_segment_align: 8
    .kernarg_segment_size: 48
    .language:       OpenCL C
    .language_version:
      - 2
      - 0
    .max_flat_workgroup_size: 256
    .name:           _ZN9rocsparseL14nnz_kernel_colILi256EllfEEv16rocsparse_order_T1_S2_PKT2_lPT0_
    .private_segment_fixed_size: 0
    .sgpr_count:     22
    .sgpr_spill_count: 0
    .symbol:         _ZN9rocsparseL14nnz_kernel_colILi256EllfEEv16rocsparse_order_T1_S2_PKT2_lPT0_.kd
    .uniform_work_group_size: 1
    .uses_dynamic_stack: false
    .vgpr_count:     21
    .vgpr_spill_count: 0
    .wavefront_size: 64
  - .args:
      - .offset:         0
        .size:           4
        .value_kind:     by_value
      - .offset:         8
        .size:           8
        .value_kind:     by_value
      - .offset:         16
        .size:           8
        .value_kind:     by_value
      - .actual_access:  read_only
        .address_space:  global
        .offset:         24
        .size:           8
        .value_kind:     global_buffer
      - .offset:         32
        .size:           8
        .value_kind:     by_value
      - .actual_access:  write_only
        .address_space:  global
        .offset:         40
        .size:           8
        .value_kind:     global_buffer
      - .offset:         48
        .size:           4
        .value_kind:     hidden_block_count_x
      - .offset:         52
        .size:           4
        .value_kind:     hidden_block_count_y
      - .offset:         56
        .size:           4
        .value_kind:     hidden_block_count_z
      - .offset:         60
        .size:           2
        .value_kind:     hidden_group_size_x
      - .offset:         62
        .size:           2
        .value_kind:     hidden_group_size_y
      - .offset:         64
        .size:           2
        .value_kind:     hidden_group_size_z
      - .offset:         66
        .size:           2
        .value_kind:     hidden_remainder_x
      - .offset:         68
        .size:           2
        .value_kind:     hidden_remainder_y
      - .offset:         70
        .size:           2
        .value_kind:     hidden_remainder_z
      - .offset:         88
        .size:           8
        .value_kind:     hidden_global_offset_x
      - .offset:         96
        .size:           8
        .value_kind:     hidden_global_offset_y
      - .offset:         104
        .size:           8
        .value_kind:     hidden_global_offset_z
      - .offset:         112
        .size:           2
        .value_kind:     hidden_grid_dims
    .group_segment_fixed_size: 32768
    .kernarg_segment_align: 8
    .kernarg_segment_size: 304
    .language:       OpenCL C
    .language_version:
      - 2
      - 0
    .max_flat_workgroup_size: 1024
    .name:           _ZN9rocsparseL14nnz_kernel_rowILi64ELi16ElldEEv16rocsparse_order_T2_S2_PKT3_lPT1_
    .private_segment_fixed_size: 0
    .sgpr_count:     47
    .sgpr_spill_count: 0
    .symbol:         _ZN9rocsparseL14nnz_kernel_rowILi64ELi16ElldEEv16rocsparse_order_T2_S2_PKT3_lPT1_.kd
    .uniform_work_group_size: 1
    .uses_dynamic_stack: false
    .vgpr_count:     47
    .vgpr_spill_count: 0
    .wavefront_size: 64
  - .args:
      - .offset:         0
        .size:           4
        .value_kind:     by_value
      - .offset:         8
        .size:           8
        .value_kind:     by_value
      - .offset:         16
        .size:           8
        .value_kind:     by_value
      - .actual_access:  read_only
        .address_space:  global
        .offset:         24
        .size:           8
        .value_kind:     global_buffer
      - .offset:         32
        .size:           8
        .value_kind:     by_value
      - .actual_access:  write_only
        .address_space:  global
        .offset:         40
        .size:           8
        .value_kind:     global_buffer
    .group_segment_fixed_size: 2048
    .kernarg_segment_align: 8
    .kernarg_segment_size: 48
    .language:       OpenCL C
    .language_version:
      - 2
      - 0
    .max_flat_workgroup_size: 256
    .name:           _ZN9rocsparseL14nnz_kernel_colILi256ElldEEv16rocsparse_order_T1_S2_PKT2_lPT0_
    .private_segment_fixed_size: 0
    .sgpr_count:     22
    .sgpr_spill_count: 0
    .symbol:         _ZN9rocsparseL14nnz_kernel_colILi256ElldEEv16rocsparse_order_T1_S2_PKT2_lPT0_.kd
    .uniform_work_group_size: 1
    .uses_dynamic_stack: false
    .vgpr_count:     21
    .vgpr_spill_count: 0
    .wavefront_size: 64
  - .args:
      - .offset:         0
        .size:           4
        .value_kind:     by_value
      - .offset:         8
        .size:           8
        .value_kind:     by_value
      - .offset:         16
        .size:           8
        .value_kind:     by_value
      - .actual_access:  read_only
        .address_space:  global
        .offset:         24
        .size:           8
        .value_kind:     global_buffer
      - .offset:         32
        .size:           8
        .value_kind:     by_value
      - .actual_access:  write_only
        .address_space:  global
        .offset:         40
        .size:           8
        .value_kind:     global_buffer
      - .offset:         48
        .size:           4
        .value_kind:     hidden_block_count_x
      - .offset:         52
        .size:           4
        .value_kind:     hidden_block_count_y
      - .offset:         56
        .size:           4
        .value_kind:     hidden_block_count_z
      - .offset:         60
        .size:           2
        .value_kind:     hidden_group_size_x
      - .offset:         62
        .size:           2
        .value_kind:     hidden_group_size_y
      - .offset:         64
        .size:           2
        .value_kind:     hidden_group_size_z
      - .offset:         66
        .size:           2
        .value_kind:     hidden_remainder_x
      - .offset:         68
        .size:           2
        .value_kind:     hidden_remainder_y
      - .offset:         70
        .size:           2
        .value_kind:     hidden_remainder_z
      - .offset:         88
        .size:           8
        .value_kind:     hidden_global_offset_x
      - .offset:         96
        .size:           8
        .value_kind:     hidden_global_offset_y
      - .offset:         104
        .size:           8
        .value_kind:     hidden_global_offset_z
      - .offset:         112
        .size:           2
        .value_kind:     hidden_grid_dims
    .group_segment_fixed_size: 32768
    .kernarg_segment_align: 8
    .kernarg_segment_size: 304
    .language:       OpenCL C
    .language_version:
      - 2
      - 0
    .max_flat_workgroup_size: 1024
    .name:           _ZN9rocsparseL14nnz_kernel_rowILi64ELi16Ell21rocsparse_complex_numIfEEEv16rocsparse_order_T2_S4_PKT3_lPT1_
    .private_segment_fixed_size: 0
    .sgpr_count:     55
    .sgpr_spill_count: 0
    .symbol:         _ZN9rocsparseL14nnz_kernel_rowILi64ELi16Ell21rocsparse_complex_numIfEEEv16rocsparse_order_T2_S4_PKT3_lPT1_.kd
    .uniform_work_group_size: 1
    .uses_dynamic_stack: false
    .vgpr_count:     47
    .vgpr_spill_count: 0
    .wavefront_size: 64
  - .args:
      - .offset:         0
        .size:           4
        .value_kind:     by_value
      - .offset:         8
        .size:           8
        .value_kind:     by_value
      - .offset:         16
        .size:           8
        .value_kind:     by_value
      - .actual_access:  read_only
        .address_space:  global
        .offset:         24
        .size:           8
        .value_kind:     global_buffer
      - .offset:         32
        .size:           8
        .value_kind:     by_value
      - .actual_access:  write_only
        .address_space:  global
        .offset:         40
        .size:           8
        .value_kind:     global_buffer
    .group_segment_fixed_size: 2048
    .kernarg_segment_align: 8
    .kernarg_segment_size: 48
    .language:       OpenCL C
    .language_version:
      - 2
      - 0
    .max_flat_workgroup_size: 256
    .name:           _ZN9rocsparseL14nnz_kernel_colILi256Ell21rocsparse_complex_numIfEEEv16rocsparse_order_T1_S4_PKT2_lPT0_
    .private_segment_fixed_size: 0
    .sgpr_count:     24
    .sgpr_spill_count: 0
    .symbol:         _ZN9rocsparseL14nnz_kernel_colILi256Ell21rocsparse_complex_numIfEEEv16rocsparse_order_T1_S4_PKT2_lPT0_.kd
    .uniform_work_group_size: 1
    .uses_dynamic_stack: false
    .vgpr_count:     21
    .vgpr_spill_count: 0
    .wavefront_size: 64
  - .args:
      - .offset:         0
        .size:           4
        .value_kind:     by_value
      - .offset:         8
        .size:           8
        .value_kind:     by_value
      - .offset:         16
        .size:           8
        .value_kind:     by_value
      - .actual_access:  read_only
        .address_space:  global
        .offset:         24
        .size:           8
        .value_kind:     global_buffer
      - .offset:         32
        .size:           8
        .value_kind:     by_value
      - .actual_access:  write_only
        .address_space:  global
        .offset:         40
        .size:           8
        .value_kind:     global_buffer
      - .offset:         48
        .size:           4
        .value_kind:     hidden_block_count_x
      - .offset:         52
        .size:           4
        .value_kind:     hidden_block_count_y
      - .offset:         56
        .size:           4
        .value_kind:     hidden_block_count_z
      - .offset:         60
        .size:           2
        .value_kind:     hidden_group_size_x
      - .offset:         62
        .size:           2
        .value_kind:     hidden_group_size_y
      - .offset:         64
        .size:           2
        .value_kind:     hidden_group_size_z
      - .offset:         66
        .size:           2
        .value_kind:     hidden_remainder_x
      - .offset:         68
        .size:           2
        .value_kind:     hidden_remainder_y
      - .offset:         70
        .size:           2
        .value_kind:     hidden_remainder_z
      - .offset:         88
        .size:           8
        .value_kind:     hidden_global_offset_x
      - .offset:         96
        .size:           8
        .value_kind:     hidden_global_offset_y
      - .offset:         104
        .size:           8
        .value_kind:     hidden_global_offset_z
      - .offset:         112
        .size:           2
        .value_kind:     hidden_grid_dims
    .group_segment_fixed_size: 32768
    .kernarg_segment_align: 8
    .kernarg_segment_size: 304
    .language:       OpenCL C
    .language_version:
      - 2
      - 0
    .max_flat_workgroup_size: 1024
    .name:           _ZN9rocsparseL14nnz_kernel_rowILi64ELi16Ell21rocsparse_complex_numIdEEEv16rocsparse_order_T2_S4_PKT3_lPT1_
    .private_segment_fixed_size: 0
    .sgpr_count:     57
    .sgpr_spill_count: 0
    .symbol:         _ZN9rocsparseL14nnz_kernel_rowILi64ELi16Ell21rocsparse_complex_numIdEEEv16rocsparse_order_T2_S4_PKT3_lPT1_.kd
    .uniform_work_group_size: 1
    .uses_dynamic_stack: false
    .vgpr_count:     55
    .vgpr_spill_count: 0
    .wavefront_size: 64
  - .args:
      - .offset:         0
        .size:           4
        .value_kind:     by_value
      - .offset:         8
        .size:           8
        .value_kind:     by_value
      - .offset:         16
        .size:           8
        .value_kind:     by_value
      - .actual_access:  read_only
        .address_space:  global
        .offset:         24
        .size:           8
        .value_kind:     global_buffer
      - .offset:         32
        .size:           8
        .value_kind:     by_value
      - .actual_access:  write_only
        .address_space:  global
        .offset:         40
        .size:           8
        .value_kind:     global_buffer
    .group_segment_fixed_size: 2048
    .kernarg_segment_align: 8
    .kernarg_segment_size: 48
    .language:       OpenCL C
    .language_version:
      - 2
      - 0
    .max_flat_workgroup_size: 256
    .name:           _ZN9rocsparseL14nnz_kernel_colILi256Ell21rocsparse_complex_numIdEEEv16rocsparse_order_T1_S4_PKT2_lPT0_
    .private_segment_fixed_size: 0
    .sgpr_count:     24
    .sgpr_spill_count: 0
    .symbol:         _ZN9rocsparseL14nnz_kernel_colILi256Ell21rocsparse_complex_numIdEEEv16rocsparse_order_T1_S4_PKT2_lPT0_.kd
    .uniform_work_group_size: 1
    .uses_dynamic_stack: false
    .vgpr_count:     21
    .vgpr_spill_count: 0
    .wavefront_size: 64
amdhsa.target:   amdgcn-amd-amdhsa--gfx906
amdhsa.version:
  - 1
  - 2
...

	.end_amdgpu_metadata
